;; amdgpu-corpus repo=ROCm/rocFFT kind=compiled arch=gfx1030 opt=O3
	.text
	.amdgcn_target "amdgcn-amd-amdhsa--gfx1030"
	.amdhsa_code_object_version 6
	.protected	fft_rtc_fwd_len289_factors_17_17_wgs_119_tpt_17_dp_ip_CI_sbcc_twdbase5_3step_dirReg ; -- Begin function fft_rtc_fwd_len289_factors_17_17_wgs_119_tpt_17_dp_ip_CI_sbcc_twdbase5_3step_dirReg
	.globl	fft_rtc_fwd_len289_factors_17_17_wgs_119_tpt_17_dp_ip_CI_sbcc_twdbase5_3step_dirReg
	.p2align	8
	.type	fft_rtc_fwd_len289_factors_17_17_wgs_119_tpt_17_dp_ip_CI_sbcc_twdbase5_3step_dirReg,@function
fft_rtc_fwd_len289_factors_17_17_wgs_119_tpt_17_dp_ip_CI_sbcc_twdbase5_3step_dirReg: ; @fft_rtc_fwd_len289_factors_17_17_wgs_119_tpt_17_dp_ip_CI_sbcc_twdbase5_3step_dirReg
; %bb.0:
	s_load_dwordx8 s[8:15], s[4:5], 0x8
	s_mov_b64 s[66:67], s[2:3]
	s_mov_b64 s[64:65], s[0:1]
	v_mov_b32_e32 v5, v0
	s_add_u32 s64, s64, s7
	s_addc_u32 s65, s65, 0
	s_mov_b32 s0, exec_lo
	v_cmpx_gt_u32_e32 0x60, v5
	s_cbranch_execz .LBB0_2
; %bb.1:
	v_lshlrev_b32_e32 v4, 4, v5
	s_waitcnt lgkmcnt(0)
	global_load_dwordx4 v[0:3], v4, s[8:9]
	v_add3_u32 v4, 0, v4, 0x7e70
	s_waitcnt vmcnt(0)
	ds_write2_b64 v4, v[0:1], v[2:3] offset1:1
.LBB0_2:
	s_or_b32 exec_lo, exec_lo, s0
	s_waitcnt lgkmcnt(0)
	s_load_dwordx2 s[18:19], s[12:13], 0x8
	s_mov_b64 s[22:23], 0
	s_waitcnt lgkmcnt(0)
	s_add_u32 s0, s18, -1
	s_addc_u32 s1, s19, -1
	s_add_u32 s2, 0, 0x92481000
	s_addc_u32 s3, 0, 0x64
	s_mul_hi_u32 s8, s2, -7
	s_add_i32 s3, s3, 0x249248c0
	s_sub_i32 s8, s8, s2
	s_mul_i32 s16, s3, -7
	s_mul_i32 s7, s2, -7
	s_add_i32 s8, s8, s16
	s_mul_hi_u32 s9, s2, s7
	s_mul_i32 s20, s2, s8
	s_mul_hi_u32 s16, s2, s8
	s_mul_hi_u32 s17, s3, s7
	s_mul_i32 s7, s3, s7
	s_add_u32 s9, s9, s20
	s_addc_u32 s16, 0, s16
	s_mul_hi_u32 s21, s3, s8
	s_add_u32 s7, s9, s7
	s_mul_i32 s8, s3, s8
	s_addc_u32 s7, s16, s17
	s_addc_u32 s9, s21, 0
	s_add_u32 s7, s7, s8
	v_add_co_u32 v0, s2, s2, s7
	s_addc_u32 s7, 0, s9
	s_cmp_lg_u32 s2, 0
	s_addc_u32 s2, s3, s7
	v_readfirstlane_b32 s3, v0
	s_mul_i32 s8, s0, s2
	s_mul_hi_u32 s7, s0, s2
	s_mul_hi_u32 s9, s1, s2
	s_mul_i32 s2, s1, s2
	s_mul_hi_u32 s16, s0, s3
	s_mul_hi_u32 s17, s1, s3
	s_mul_i32 s3, s1, s3
	s_add_u32 s8, s16, s8
	s_addc_u32 s7, 0, s7
	s_add_u32 s3, s8, s3
	s_addc_u32 s3, s7, s17
	s_addc_u32 s7, s9, 0
	s_add_u32 s2, s3, s2
	s_addc_u32 s3, 0, s7
	s_mul_i32 s8, s2, 7
	s_add_u32 s7, s2, 1
	v_sub_co_u32 v0, s0, s0, s8
	s_mul_hi_u32 s8, s2, 7
	s_addc_u32 s9, s3, 0
	s_mul_i32 s16, s3, 7
	v_sub_co_u32 v1, s17, v0, 7
	s_add_u32 s20, s2, 2
	s_addc_u32 s21, s3, 0
	s_add_i32 s8, s8, s16
	s_cmp_lg_u32 s0, 0
	v_readfirstlane_b32 s0, v1
	s_subb_u32 s1, s1, s8
	s_cmp_lg_u32 s17, 0
	s_subb_u32 s8, s1, 0
	s_cmp_gt_u32 s0, 6
	s_cselect_b32 s0, -1, 0
	s_cmp_eq_u32 s8, 0
	v_readfirstlane_b32 s8, v0
	s_cselect_b32 s0, s0, -1
	s_cmp_lg_u32 s0, 0
	s_cselect_b32 s0, s20, s7
	s_cselect_b32 s9, s21, s9
	s_cmp_gt_u32 s8, 6
	s_cselect_b32 s7, -1, 0
	s_cmp_eq_u32 s1, 0
	s_cselect_b32 s1, s7, -1
	s_mov_b32 s7, 0
	s_cmp_lg_u32 s1, 0
	s_cselect_b32 s0, s0, s2
	s_cselect_b32 s1, s9, s3
	s_add_u32 s20, s0, 1
	s_addc_u32 s21, s1, 0
	v_cmp_lt_u64_e64 s0, s[6:7], s[20:21]
	s_and_b32 vcc_lo, exec_lo, s0
	s_cbranch_vccnz .LBB0_4
; %bb.3:
	v_cvt_f32_u32_e32 v0, s20
	s_sub_i32 s1, 0, s20
	s_mov_b32 s23, s7
	v_rcp_iflag_f32_e32 v0, v0
	v_mul_f32_e32 v0, 0x4f7ffffe, v0
	v_cvt_u32_f32_e32 v0, v0
	v_readfirstlane_b32 s0, v0
	s_mul_i32 s1, s1, s0
	s_mul_hi_u32 s1, s0, s1
	s_add_i32 s0, s0, s1
	s_mul_hi_u32 s0, s6, s0
	s_mul_i32 s1, s0, s20
	s_add_i32 s2, s0, 1
	s_sub_i32 s1, s6, s1
	s_sub_i32 s3, s1, s20
	s_cmp_ge_u32 s1, s20
	s_cselect_b32 s0, s2, s0
	s_cselect_b32 s1, s3, s1
	s_add_i32 s2, s0, 1
	s_cmp_ge_u32 s1, s20
	s_cselect_b32 s22, s2, s0
.LBB0_4:
	s_load_dwordx4 s[0:3], s[14:15], 0x0
	s_clause 0x1
	s_load_dwordx2 s[8:9], s[4:5], 0x58
	s_load_dwordx2 s[16:17], s[4:5], 0x0
	s_mul_i32 s4, s22, s21
	s_mul_hi_u32 s5, s22, s20
	s_mul_i32 s24, s22, s20
	s_add_i32 s5, s5, s4
	s_sub_u32 s34, s6, s24
	s_subb_u32 s4, 0, s5
	s_mul_hi_u32 s33, s34, 7
	s_mul_i32 s4, s4, 7
	v_cmp_lt_u64_e64 s25, s[10:11], 3
	s_mul_i32 s34, s34, 7
	s_add_i32 s33, s33, s4
	s_and_b32 vcc_lo, exec_lo, s25
	s_waitcnt lgkmcnt(0)
	s_mul_i32 s4, s2, s33
	s_mul_hi_u32 s5, s2, s34
	s_mul_i32 s24, s3, s34
	s_add_i32 s4, s5, s4
	s_mul_i32 s35, s2, s34
	s_add_i32 s36, s4, s24
	s_cbranch_vccnz .LBB0_14
; %bb.5:
	s_add_u32 s4, s14, 16
	s_addc_u32 s5, s15, 0
	s_add_u32 s12, s12, 16
	s_addc_u32 s13, s13, 0
	s_mov_b64 s[24:25], 2
	s_mov_b32 s26, 0
.LBB0_6:                                ; =>This Inner Loop Header: Depth=1
	s_load_dwordx2 s[28:29], s[12:13], 0x0
	s_waitcnt lgkmcnt(0)
	s_or_b64 s[30:31], s[22:23], s[28:29]
	s_mov_b32 s27, s31
                                        ; implicit-def: $sgpr30_sgpr31
	s_cmp_lg_u64 s[26:27], 0
	s_mov_b32 s27, -1
	s_cbranch_scc0 .LBB0_8
; %bb.7:                                ;   in Loop: Header=BB0_6 Depth=1
	v_cvt_f32_u32_e32 v0, s28
	v_cvt_f32_u32_e32 v1, s29
	s_sub_u32 s31, 0, s28
	s_subb_u32 s37, 0, s29
	v_fmac_f32_e32 v0, 0x4f800000, v1
	v_rcp_f32_e32 v0, v0
	v_mul_f32_e32 v0, 0x5f7ffffc, v0
	v_mul_f32_e32 v1, 0x2f800000, v0
	v_trunc_f32_e32 v1, v1
	v_fmac_f32_e32 v0, 0xcf800000, v1
	v_cvt_u32_f32_e32 v1, v1
	v_cvt_u32_f32_e32 v0, v0
	v_readfirstlane_b32 s27, v1
	v_readfirstlane_b32 s30, v0
	s_mul_i32 s38, s31, s27
	s_mul_hi_u32 s40, s31, s30
	s_mul_i32 s39, s37, s30
	s_add_i32 s38, s40, s38
	s_mul_i32 s41, s31, s30
	s_add_i32 s38, s38, s39
	s_mul_hi_u32 s40, s30, s41
	s_mul_hi_u32 s42, s27, s41
	s_mul_i32 s39, s27, s41
	s_mul_hi_u32 s41, s30, s38
	s_mul_i32 s30, s30, s38
	s_mul_hi_u32 s43, s27, s38
	s_add_u32 s30, s40, s30
	s_addc_u32 s40, 0, s41
	s_add_u32 s30, s30, s39
	s_mul_i32 s38, s27, s38
	s_addc_u32 s30, s40, s42
	s_addc_u32 s39, s43, 0
	s_add_u32 s30, s30, s38
	s_addc_u32 s38, 0, s39
	v_add_co_u32 v0, s30, v0, s30
	s_cmp_lg_u32 s30, 0
	s_addc_u32 s27, s27, s38
	v_readfirstlane_b32 s30, v0
	s_mul_i32 s38, s31, s27
	s_mul_hi_u32 s39, s31, s30
	s_mul_i32 s37, s37, s30
	s_add_i32 s38, s39, s38
	s_mul_i32 s31, s31, s30
	s_add_i32 s38, s38, s37
	s_mul_hi_u32 s39, s27, s31
	s_mul_i32 s40, s27, s31
	s_mul_hi_u32 s31, s30, s31
	s_mul_hi_u32 s41, s30, s38
	s_mul_i32 s30, s30, s38
	s_mul_hi_u32 s37, s27, s38
	s_add_u32 s30, s31, s30
	s_addc_u32 s31, 0, s41
	s_add_u32 s30, s30, s40
	s_mul_i32 s38, s27, s38
	s_addc_u32 s30, s31, s39
	s_addc_u32 s31, s37, 0
	s_add_u32 s30, s30, s38
	s_addc_u32 s31, 0, s31
	v_add_co_u32 v0, s30, v0, s30
	s_cmp_lg_u32 s30, 0
	s_addc_u32 s27, s27, s31
	v_readfirstlane_b32 s30, v0
	s_mul_i32 s37, s22, s27
	s_mul_hi_u32 s31, s22, s27
	s_mul_hi_u32 s38, s23, s27
	s_mul_i32 s27, s23, s27
	s_mul_hi_u32 s39, s22, s30
	s_mul_hi_u32 s40, s23, s30
	s_mul_i32 s30, s23, s30
	s_add_u32 s37, s39, s37
	s_addc_u32 s31, 0, s31
	s_add_u32 s30, s37, s30
	s_addc_u32 s30, s31, s40
	s_addc_u32 s31, s38, 0
	s_add_u32 s30, s30, s27
	s_addc_u32 s31, 0, s31
	s_mul_hi_u32 s27, s28, s30
	s_mul_i32 s38, s28, s31
	s_mul_i32 s39, s28, s30
	s_add_i32 s27, s27, s38
	v_sub_co_u32 v0, s38, s22, s39
	s_mul_i32 s37, s29, s30
	s_add_i32 s27, s27, s37
	v_sub_co_u32 v1, s39, v0, s28
	s_sub_i32 s37, s23, s27
	s_cmp_lg_u32 s38, 0
	s_subb_u32 s37, s37, s29
	s_cmp_lg_u32 s39, 0
	v_readfirstlane_b32 s39, v1
	s_subb_u32 s37, s37, 0
	s_cmp_ge_u32 s37, s29
	s_cselect_b32 s40, -1, 0
	s_cmp_ge_u32 s39, s28
	s_cselect_b32 s39, -1, 0
	s_cmp_eq_u32 s37, s29
	s_cselect_b32 s37, s39, s40
	s_add_u32 s39, s30, 1
	s_addc_u32 s40, s31, 0
	s_add_u32 s41, s30, 2
	s_addc_u32 s42, s31, 0
	s_cmp_lg_u32 s37, 0
	s_cselect_b32 s37, s41, s39
	s_cselect_b32 s39, s42, s40
	s_cmp_lg_u32 s38, 0
	v_readfirstlane_b32 s38, v0
	s_subb_u32 s27, s23, s27
	s_cmp_ge_u32 s27, s29
	s_cselect_b32 s40, -1, 0
	s_cmp_ge_u32 s38, s28
	s_cselect_b32 s38, -1, 0
	s_cmp_eq_u32 s27, s29
	s_cselect_b32 s27, s38, s40
	s_cmp_lg_u32 s27, 0
	s_mov_b32 s27, 0
	s_cselect_b32 s31, s39, s31
	s_cselect_b32 s30, s37, s30
.LBB0_8:                                ;   in Loop: Header=BB0_6 Depth=1
	s_andn2_b32 vcc_lo, exec_lo, s27
	s_cbranch_vccnz .LBB0_10
; %bb.9:                                ;   in Loop: Header=BB0_6 Depth=1
	v_cvt_f32_u32_e32 v0, s28
	s_sub_i32 s30, 0, s28
	v_rcp_iflag_f32_e32 v0, v0
	v_mul_f32_e32 v0, 0x4f7ffffe, v0
	v_cvt_u32_f32_e32 v0, v0
	v_readfirstlane_b32 s27, v0
	s_mul_i32 s30, s30, s27
	s_mul_hi_u32 s30, s27, s30
	s_add_i32 s27, s27, s30
	s_mul_hi_u32 s27, s22, s27
	s_mul_i32 s30, s27, s28
	s_add_i32 s31, s27, 1
	s_sub_i32 s30, s22, s30
	s_sub_i32 s37, s30, s28
	s_cmp_ge_u32 s30, s28
	s_cselect_b32 s27, s31, s27
	s_cselect_b32 s30, s37, s30
	s_add_i32 s31, s27, 1
	s_cmp_ge_u32 s30, s28
	s_cselect_b32 s30, s31, s27
	s_mov_b32 s31, s26
.LBB0_10:                               ;   in Loop: Header=BB0_6 Depth=1
	s_load_dwordx2 s[38:39], s[4:5], 0x0
	s_mul_i32 s21, s28, s21
	s_mul_hi_u32 s27, s28, s20
	s_mul_i32 s37, s29, s20
	s_mul_i32 s29, s30, s29
	s_mul_hi_u32 s40, s30, s28
	s_mul_i32 s41, s31, s28
	s_add_i32 s21, s27, s21
	s_add_i32 s27, s40, s29
	s_mul_i32 s42, s30, s28
	s_add_i32 s21, s21, s37
	s_add_i32 s27, s27, s41
	s_sub_u32 s22, s22, s42
	s_subb_u32 s23, s23, s27
	s_mul_i32 s20, s28, s20
	s_waitcnt lgkmcnt(0)
	s_mul_i32 s23, s38, s23
	s_mul_hi_u32 s27, s38, s22
	s_add_i32 s23, s27, s23
	s_mul_i32 s27, s39, s22
	s_mul_i32 s22, s38, s22
	s_add_i32 s23, s23, s27
	s_add_u32 s35, s22, s35
	s_addc_u32 s36, s23, s36
	s_add_u32 s24, s24, 1
	s_addc_u32 s25, s25, 0
	s_add_u32 s4, s4, 8
	v_cmp_ge_u64_e64 s22, s[24:25], s[10:11]
	s_addc_u32 s5, s5, 0
	s_add_u32 s12, s12, 8
	s_addc_u32 s13, s13, 0
	s_and_b32 vcc_lo, exec_lo, s22
	s_cbranch_vccnz .LBB0_12
; %bb.11:                               ;   in Loop: Header=BB0_6 Depth=1
	s_mov_b64 s[22:23], s[30:31]
	s_branch .LBB0_6
.LBB0_12:
	v_cmp_lt_u64_e64 s4, s[6:7], s[20:21]
	s_mov_b64 s[22:23], 0
	s_and_b32 vcc_lo, exec_lo, s4
	s_cbranch_vccnz .LBB0_14
; %bb.13:
	v_cvt_f32_u32_e32 v0, s20
	s_sub_i32 s5, 0, s20
	v_rcp_iflag_f32_e32 v0, v0
	v_mul_f32_e32 v0, 0x4f7ffffe, v0
	v_cvt_u32_f32_e32 v0, v0
	v_readfirstlane_b32 s4, v0
	s_mul_i32 s5, s5, s4
	s_mul_hi_u32 s5, s4, s5
	s_add_i32 s4, s4, s5
	s_mul_hi_u32 s4, s6, s4
	s_mul_i32 s5, s4, s20
	s_sub_i32 s5, s6, s5
	s_add_i32 s6, s4, 1
	s_sub_i32 s7, s5, s20
	s_cmp_ge_u32 s5, s20
	s_cselect_b32 s4, s6, s4
	s_cselect_b32 s5, s7, s5
	s_add_i32 s6, s4, 1
	s_cmp_ge_u32 s5, s20
	s_cselect_b32 s22, s6, s4
.LBB0_14:
	s_lshl_b64 s[4:5], s[10:11], 3
	v_mul_hi_u32 v0, 0x24924925, v5
	s_add_u32 s4, s14, s4
	s_addc_u32 s5, s15, s5
	buffer_store_dword v5, off, s[64:67], 0 offset:4 ; 4-byte Folded Spill
	s_load_dwordx2 s[4:5], s[4:5], 0x0
                                        ; implicit-def: $vgpr7_vgpr8
                                        ; implicit-def: $vgpr11_vgpr12
                                        ; implicit-def: $vgpr15_vgpr16
                                        ; implicit-def: $vgpr19_vgpr20
                                        ; implicit-def: $vgpr23_vgpr24
                                        ; implicit-def: $vgpr27_vgpr28
                                        ; implicit-def: $vgpr31_vgpr32
                                        ; implicit-def: $vgpr39_vgpr40
                                        ; implicit-def: $vgpr59_vgpr60
                                        ; implicit-def: $vgpr63_vgpr64
                                        ; implicit-def: $vgpr67_vgpr68
                                        ; implicit-def: $vgpr43_vgpr44
                                        ; implicit-def: $vgpr47_vgpr48
                                        ; implicit-def: $vgpr55_vgpr56
                                        ; implicit-def: $vgpr51_vgpr52
                                        ; implicit-def: $vgpr35_vgpr36
                                        ; implicit-def: $vgpr3_vgpr4
	v_mul_u32_u24_e32 v1, 7, v0
	v_sub_nc_u32_e32 v1, v5, v1
	v_add_co_u32 v69, s6, s34, v1
	v_add_co_ci_u32_e64 v70, null, s33, 0, s6
	buffer_store_dword v1, off, s[64:67], 0 ; 4-byte Folded Spill
	s_waitcnt lgkmcnt(0)
	s_mul_i32 s5, s5, s22
	s_mul_hi_u32 s6, s4, s22
	s_mul_i32 s4, s4, s22
	s_add_i32 s6, s6, s5
	s_add_u32 s4, s4, s35
	s_addc_u32 s5, s6, s36
	s_add_u32 s6, s34, 7
	s_addc_u32 s7, s33, 0
	v_cmp_gt_u64_e32 vcc_lo, s[18:19], v[69:70]
	v_cmp_le_u64_e64 s6, s[6:7], s[18:19]
	s_or_b32 s33, s6, vcc_lo
	s_and_saveexec_b32 s6, s33
	s_cbranch_execz .LBB0_16
; %bb.15:
	buffer_load_dword v7, off, s[64:67], 0  ; 4-byte Folded Reload
	v_mad_u64_u32 v[3:4], null, s0, v0, 0
	v_add_nc_u32_e32 v11, 17, v0
	v_add_nc_u32_e32 v12, 34, v0
	;; [unrolled: 1-line block ×3, first 2 shown]
	s_lshl_b64 s[10:11], s[4:5], 4
	v_add_nc_u32_e32 v16, 0x55, v0
	v_mad_u64_u32 v[5:6], null, s0, v11, 0
	s_add_u32 s7, s8, s10
	s_addc_u32 s10, s9, s11
	v_add_nc_u32_e32 v15, 0x44, v0
	v_add_nc_u32_e32 v17, 0x66, v0
	;; [unrolled: 1-line block ×8, first 2 shown]
	v_mad_u64_u32 v[19:20], null, s0, v22, 0
	s_waitcnt vmcnt(0)
	v_mad_u64_u32 v[1:2], null, s2, v7, 0
	v_mad_u64_u32 v[7:8], null, s3, v7, v[2:3]
	;; [unrolled: 1-line block ×3, first 2 shown]
	v_mov_b32_e32 v4, v6
	v_mad_u64_u32 v[9:10], null, s0, v12, 0
	v_mov_b32_e32 v2, v7
	v_mad_u64_u32 v[6:7], null, s1, v11, v[4:5]
	;; [unrolled: 2-line block ×3, first 2 shown]
	v_lshlrev_b64 v[1:2], 4, v[1:2]
	v_lshlrev_b64 v[3:4], 4, v[3:4]
	v_add_co_u32 v32, vcc_lo, s7, v1
	v_add_co_ci_u32_e32 v70, vcc_lo, s10, v2, vcc_lo
	v_lshlrev_b64 v[1:2], 4, v[5:6]
	v_mad_u64_u32 v[5:6], null, s1, v12, v[10:11]
	v_add_co_u32 v3, vcc_lo, v32, v3
	v_mov_b32_e32 v6, v8
	v_add_co_ci_u32_e32 v4, vcc_lo, v70, v4, vcc_lo
	v_add_co_u32 v11, vcc_lo, v32, v1
	v_add_co_ci_u32_e32 v12, vcc_lo, v70, v2, vcc_lo
	v_mad_u64_u32 v[1:2], null, s1, v13, v[6:7]
	v_mad_u64_u32 v[13:14], null, s0, v16, 0
	v_mov_b32_e32 v10, v5
	v_mad_u64_u32 v[5:6], null, s0, v15, 0
	v_mov_b32_e32 v8, v1
	s_clause 0x1
	global_load_dwordx4 v[1:4], v[3:4], off
	global_load_dwordx4 v[33:36], v[11:12], off
	v_mov_b32_e32 v11, v14
	v_lshlrev_b64 v[9:10], 4, v[9:10]
	v_lshlrev_b64 v[7:8], 4, v[7:8]
	v_mad_u64_u32 v[11:12], null, s1, v16, v[11:12]
	v_add_co_u32 v9, vcc_lo, v32, v9
	v_mad_u64_u32 v[14:15], null, s1, v15, v[6:7]
	v_mad_u64_u32 v[15:16], null, s0, v17, 0
	v_add_co_ci_u32_e32 v10, vcc_lo, v70, v10, vcc_lo
	v_add_co_u32 v7, vcc_lo, v32, v7
	v_mov_b32_e32 v6, v14
	v_mov_b32_e32 v14, v11
	;; [unrolled: 1-line block ×3, first 2 shown]
	v_add_co_ci_u32_e32 v8, vcc_lo, v70, v8, vcc_lo
	v_lshlrev_b64 v[5:6], 4, v[5:6]
	v_lshlrev_b64 v[12:13], 4, v[13:14]
	v_add_co_u32 v5, vcc_lo, v32, v5
	v_mad_u64_u32 v[16:17], null, s1, v17, v[11:12]
	v_mad_u64_u32 v[17:18], null, s0, v21, 0
	v_add_co_ci_u32_e32 v6, vcc_lo, v70, v6, vcc_lo
	v_add_co_u32 v11, vcc_lo, v32, v12
	v_add_co_ci_u32_e32 v12, vcc_lo, v70, v13, vcc_lo
	v_mov_b32_e32 v13, v18
	s_clause 0x3
	global_load_dwordx4 v[49:52], v[9:10], off
	global_load_dwordx4 v[53:56], v[7:8], off
	;; [unrolled: 1-line block ×4, first 2 shown]
	v_mov_b32_e32 v7, v20
	v_lshlrev_b64 v[5:6], 4, v[15:16]
	v_mad_u64_u32 v[13:14], null, s1, v21, v[13:14]
	v_add_nc_u32_e32 v21, 0x99, v0
	v_add_co_u32 v5, vcc_lo, v32, v5
	v_add_co_ci_u32_e32 v6, vcc_lo, v70, v6, vcc_lo
	v_mad_u64_u32 v[8:9], null, s0, v21, 0
	v_mov_b32_e32 v18, v13
	v_mad_u64_u32 v[10:11], null, s1, v22, v[7:8]
	v_add_nc_u32_e32 v22, 0xaa, v0
	v_lshlrev_b64 v[11:12], 4, v[17:18]
	v_mov_b32_e32 v7, v9
	v_mad_u64_u32 v[13:14], null, s0, v22, 0
	v_mov_b32_e32 v20, v10
	v_mad_u64_u32 v[9:10], null, s1, v21, v[7:8]
	v_add_co_u32 v10, vcc_lo, v32, v11
	v_add_co_ci_u32_e32 v11, vcc_lo, v70, v12, vcc_lo
	v_mov_b32_e32 v7, v14
	v_add_nc_u32_e32 v12, 0xbb, v0
	v_lshlrev_b64 v[15:16], 4, v[19:20]
	s_clause 0x1
	global_load_dwordx4 v[65:68], v[5:6], off
	global_load_dwordx4 v[61:64], v[10:11], off
	v_mad_u64_u32 v[19:20], null, s1, v22, v[7:8]
	v_mad_u64_u32 v[17:18], null, s0, v12, 0
	v_lshlrev_b64 v[7:8], 4, v[8:9]
	v_add_co_u32 v15, vcc_lo, v32, v15
	v_add_co_ci_u32_e32 v16, vcc_lo, v70, v16, vcc_lo
	v_mov_b32_e32 v14, v19
	v_mad_u64_u32 v[19:20], null, s0, v24, 0
	v_mov_b32_e32 v9, v18
	v_add_co_u32 v7, vcc_lo, v32, v7
	v_add_co_ci_u32_e32 v8, vcc_lo, v70, v8, vcc_lo
	v_mad_u64_u32 v[21:22], null, s1, v12, v[9:10]
	v_mov_b32_e32 v9, v20
	v_mad_u64_u32 v[22:23], null, s0, v26, 0
	v_lshlrev_b64 v[12:13], 4, v[13:14]
	v_mad_u64_u32 v[24:25], null, s1, v24, v[9:10]
	v_mov_b32_e32 v18, v21
	v_add_nc_u32_e32 v21, 0xee, v0
	v_mov_b32_e32 v9, v23
	v_add_co_u32 v12, vcc_lo, v32, v12
	v_lshlrev_b64 v[17:18], 4, v[17:18]
	v_mov_b32_e32 v20, v24
	v_mad_u64_u32 v[23:24], null, s1, v26, v[9:10]
	v_mad_u64_u32 v[24:25], null, s0, v21, 0
	;; [unrolled: 1-line block ×3, first 2 shown]
	v_lshlrev_b64 v[19:20], 4, v[19:20]
	v_add_co_ci_u32_e32 v13, vcc_lo, v70, v13, vcc_lo
	v_add_co_u32 v17, vcc_lo, v32, v17
	v_mov_b32_e32 v9, v25
	v_mov_b32_e32 v14, v27
	v_add_co_ci_u32_e32 v18, vcc_lo, v70, v18, vcc_lo
	v_add_co_u32 v19, vcc_lo, v32, v19
	v_mad_u64_u32 v[27:28], null, s1, v21, v[9:10]
	v_mad_u64_u32 v[28:29], null, s0, v37, 0
	;; [unrolled: 1-line block ×3, first 2 shown]
	v_lshlrev_b64 v[21:22], 4, v[22:23]
	v_add_co_ci_u32_e32 v20, vcc_lo, v70, v20, vcc_lo
	v_mov_b32_e32 v25, v27
	v_mov_b32_e32 v9, v29
	;; [unrolled: 1-line block ×3, first 2 shown]
	v_mad_u64_u32 v[5:6], null, s1, v37, v[9:10]
	v_add_co_u32 v9, vcc_lo, v32, v21
	v_add_co_ci_u32_e32 v10, vcc_lo, v70, v22, vcc_lo
	v_lshlrev_b64 v[21:22], 4, v[24:25]
	s_clause 0x1
	global_load_dwordx4 v[57:60], v[15:16], off
	global_load_dwordx4 v[37:40], v[7:8], off
	v_mov_b32_e32 v29, v5
	v_lshlrev_b64 v[6:7], 4, v[26:27]
	v_add_co_u32 v14, vcc_lo, v32, v21
	v_add_co_ci_u32_e32 v15, vcc_lo, v70, v22, vcc_lo
	v_lshlrev_b64 v[21:22], 4, v[28:29]
	v_add_co_u32 v5, vcc_lo, v32, v6
	v_add_co_ci_u32_e32 v6, vcc_lo, v70, v7, vcc_lo
	v_add_co_u32 v7, vcc_lo, v32, v21
	v_add_co_ci_u32_e32 v8, vcc_lo, v70, v22, vcc_lo
	s_clause 0x6
	global_load_dwordx4 v[29:32], v[12:13], off
	global_load_dwordx4 v[25:28], v[17:18], off
	;; [unrolled: 1-line block ×7, first 2 shown]
.LBB0_16:
	s_or_b32 exec_lo, exec_lo, s6
	s_waitcnt vmcnt(15)
	v_add_f64 v[70:71], v[33:34], v[1:2]
	v_add_f64 v[72:73], v[35:36], v[3:4]
	s_waitcnt vmcnt(3)
	v_add_f64 v[98:99], v[19:20], v[47:48]
	v_add_f64 v[100:101], v[47:48], -v[19:20]
	s_waitcnt vmcnt(1)
	v_add_f64 v[118:119], v[9:10], v[49:50]
	v_add_f64 v[116:117], v[49:50], -v[9:10]
	v_add_f64 v[102:103], v[21:22], v[41:42]
	v_add_f64 v[104:105], v[41:42], -v[21:22]
	s_waitcnt vmcnt(0)
	v_add_f64 v[126:127], v[7:8], v[35:36]
	v_add_f64 v[128:129], v[35:36], -v[7:8]
	v_add_f64 v[108:109], v[17:18], v[45:46]
	v_add_f64 v[110:111], v[45:46], -v[17:18]
	v_add_f64 v[114:115], v[13:14], v[53:54]
	v_add_f64 v[106:107], v[15:16], v[55:56]
	v_add_f64 v[112:113], v[53:54], -v[13:14]
	s_mov_b32 s10, 0x370991
	s_mov_b32 s6, 0x5d8e7cdc
	;; [unrolled: 1-line block ×7, first 2 shown]
	v_add_f64 v[76:77], v[49:50], v[70:71]
	v_add_f64 v[82:83], v[51:52], v[72:73]
	s_mov_b32 s52, 0x2a9d6da3
	s_mov_b32 s43, 0x3fe7a5f6
	s_mov_b32 s53, 0x3fe58eea
	s_mov_b32 s45, 0xbfe58eea
	s_mov_b32 s44, s52
	v_add_f64 v[78:79], v[37:38], v[57:58]
	v_add_f64 v[70:71], v[39:40], v[59:60]
	v_add_f64 v[80:81], v[57:58], -v[37:38]
	v_add_f64 v[72:73], v[59:60], -v[39:40]
	v_mul_f64 v[124:125], v[116:117], s[44:45]
	s_mov_b32 s26, 0x2b2883cd
	s_mov_b32 s34, 0x7c9e640b
	;; [unrolled: 1-line block ×10, first 2 shown]
	v_add_f64 v[120:121], v[53:54], v[76:77]
	v_add_f64 v[122:123], v[55:56], v[82:83]
	v_add_f64 v[53:54], v[55:56], -v[15:16]
	v_add_f64 v[55:56], v[11:12], v[51:52]
	s_mov_b32 s37, 0x3fb79ee6
	s_mov_b32 s29, 0xbfd183b1
	;; [unrolled: 1-line block ×6, first 2 shown]
	v_add_f64 v[82:83], v[27:28], v[67:68]
	v_add_f64 v[84:85], v[67:68], -v[27:28]
	s_mov_b32 s58, 0xeb564b22
	s_mov_b32 s46, 0x923c349f
	;; [unrolled: 1-line block ×10, first 2 shown]
	v_add_f64 v[49:50], v[45:46], v[120:121]
	v_add_f64 v[47:48], v[47:48], v[122:123]
	v_add_f64 v[45:46], v[51:52], -v[11:12]
	v_add_f64 v[51:52], v[5:6], v[33:34]
	v_add_f64 v[33:34], v[33:34], -v[5:6]
	v_mul_f64 v[122:123], v[118:119], s[42:43]
	v_mul_f64 v[120:121], v[112:113], s[40:41]
	v_fma_f64 v[226:227], v[55:56], s[42:43], v[124:125]
	s_mov_b32 s25, 0xbfe9895b
	s_mov_b32 s49, 0x3fe0d888
	;; [unrolled: 1-line block ×10, first 2 shown]
	v_add_f64 v[86:87], v[29:30], v[61:62]
	v_add_f64 v[74:75], v[31:32], v[63:64]
	v_add_f64 v[88:89], v[61:62], -v[29:30]
	v_add_f64 v[76:77], v[63:64], -v[31:32]
	v_add_f64 v[35:36], v[41:42], v[49:50]
	v_add_f64 v[41:42], v[43:44], v[47:48]
	;; [unrolled: 1-line block ×3, first 2 shown]
	v_mul_f64 v[130:131], v[51:52], s[10:11]
	v_mul_f64 v[150:151], v[33:34], s[50:51]
	;; [unrolled: 1-line block ×10, first 2 shown]
	v_fma_f64 v[222:223], v[45:46], s[52:53], v[122:123]
	v_add_f64 v[96:97], v[65:66], -v[25:26]
	v_mul_f64 v[154:155], v[33:34], s[40:41]
	v_mul_f64 v[156:157], v[33:34], s[38:39]
	;; [unrolled: 1-line block ×7, first 2 shown]
	v_add_f64 v[35:36], v[65:66], v[35:36]
	v_add_f64 v[41:42], v[67:68], v[41:42]
	v_mul_f64 v[67:68], v[114:115], s[26:27]
	v_fma_f64 v[194:195], v[128:129], s[6:7], v[130:131]
	v_fma_f64 v[206:207], v[126:127], s[10:11], v[150:151]
	v_mul_f64 v[65:66], v[110:111], s[38:39]
	v_fma_f64 v[130:131], v[128:129], s[50:51], v[130:131]
	v_fma_f64 v[218:219], v[128:129], s[52:53], v[132:133]
	;; [unrolled: 1-line block ×12, first 2 shown]
	v_add_f64 v[90:91], v[23:24], v[43:44]
	v_add_f64 v[92:93], v[43:44], -v[23:24]
	v_mul_f64 v[51:52], v[102:103], s[28:29]
	v_mul_f64 v[168:169], v[114:115], s[22:23]
	v_add_f64 v[35:36], v[61:62], v[35:36]
	v_add_f64 v[148:149], v[63:64], v[41:42]
	v_mul_f64 v[63:64], v[108:109], s[36:37]
	v_add_f64 v[194:195], v[1:2], v[194:195]
	v_add_f64 v[206:207], v[3:4], v[206:207]
	v_fma_f64 v[236:237], v[53:54], s[34:35], v[67:68]
	v_mul_f64 v[61:62], v[104:105], s[30:31]
	v_mul_f64 v[170:171], v[112:113], s[24:25]
	;; [unrolled: 1-line block ×4, first 2 shown]
	v_fma_f64 v[232:233], v[126:127], s[26:27], v[154:155]
	v_fma_f64 v[154:155], v[126:127], s[26:27], -v[154:155]
	v_fma_f64 v[234:235], v[126:127], s[36:37], v[156:157]
	v_fma_f64 v[156:157], v[126:127], s[36:37], -v[156:157]
	v_add_f64 v[218:219], v[1:2], v[218:219]
	v_fma_f64 v[242:243], v[55:56], s[36:37], v[166:167]
	v_fma_f64 v[244:245], v[98:99], s[36:37], v[65:66]
	v_mul_f64 v[49:50], v[96:97], s[24:25]
	v_mul_f64 v[172:173], v[108:109], s[14:15]
	;; [unrolled: 1-line block ×5, first 2 shown]
	v_add_f64 v[57:58], v[57:58], v[35:36]
	v_add_f64 v[59:60], v[59:60], v[148:149]
	v_mul_f64 v[148:149], v[118:119], s[36:37]
	v_add_f64 v[194:195], v[222:223], v[194:195]
	v_add_f64 v[206:207], v[226:227], v[206:207]
	v_fma_f64 v[222:223], v[126:127], s[28:29], v[158:159]
	v_fma_f64 v[226:227], v[126:127], s[14:15], v[164:165]
	v_add_f64 v[132:133], v[1:2], v[132:133]
	v_fma_f64 v[246:247], v[90:91], s[28:29], v[61:62]
	v_fma_f64 v[166:167], v[55:56], s[36:37], -v[166:167]
	v_add_f64 v[220:221], v[1:2], v[220:221]
	v_fma_f64 v[250:251], v[53:54], s[56:57], v[168:169]
	v_add_f64 v[232:233], v[3:4], v[232:233]
	v_fma_f64 v[252:253], v[106:107], s[22:23], v[170:171]
	v_mul_f64 v[47:48], v[94:95], s[22:23]
	v_mul_f64 v[43:44], v[88:89], s[20:21]
	;; [unrolled: 1-line block ×5, first 2 shown]
	v_fma_f64 v[168:169], v[53:54], s[24:25], v[168:169]
	v_fma_f64 v[170:171], v[106:107], s[22:23], -v[170:171]
	v_mul_f64 v[41:42], v[86:87], s[18:19]
	v_add_f64 v[37:38], v[37:38], v[57:58]
	v_add_f64 v[39:40], v[39:40], v[59:60]
	v_fma_f64 v[240:241], v[45:46], s[58:59], v[148:149]
	v_add_f64 v[194:195], v[236:237], v[194:195]
	v_add_f64 v[206:207], v[238:239], v[206:207]
	v_fma_f64 v[148:149], v[45:46], s[38:39], v[148:149]
	v_fma_f64 v[236:237], v[92:93], s[46:47], v[51:52]
	;; [unrolled: 1-line block ×3, first 2 shown]
	v_mul_f64 v[57:58], v[110:111], s[46:47]
	v_mul_f64 v[35:36], v[80:81], s[12:13]
	;; [unrolled: 1-line block ×8, first 2 shown]
	v_fma_f64 v[188:189], v[45:46], s[24:25], v[188:189]
	v_add_f64 v[154:155], v[3:4], v[154:155]
	v_mul_f64 v[33:34], v[78:79], s[14:15]
	v_mul_f64 v[186:187], v[88:89], s[34:35]
	;; [unrolled: 1-line block ×4, first 2 shown]
	v_add_f64 v[29:30], v[29:30], v[37:38]
	v_add_f64 v[31:32], v[31:32], v[39:40]
	v_fma_f64 v[37:38], v[128:129], s[46:47], v[138:139]
	v_fma_f64 v[39:40], v[128:129], s[30:31], v[138:139]
	;; [unrolled: 1-line block ×4, first 2 shown]
	v_fma_f64 v[128:129], v[126:127], s[10:11], -v[150:151]
	v_fma_f64 v[150:151], v[126:127], s[42:43], v[152:153]
	v_fma_f64 v[152:153], v[126:127], s[42:43], -v[152:153]
	v_add_f64 v[218:219], v[240:241], v[218:219]
	v_fma_f64 v[240:241], v[55:56], s[22:23], v[190:191]
	v_add_f64 v[206:207], v[244:245], v[206:207]
	v_add_f64 v[132:133], v[148:149], v[132:133]
	v_fma_f64 v[244:245], v[53:54], s[12:13], v[192:193]
	v_add_f64 v[220:221], v[238:239], v[220:221]
	v_fma_f64 v[148:149], v[74:75], s[18:19], v[43:44]
	v_fma_f64 v[238:239], v[90:91], s[18:19], v[178:179]
	v_fma_f64 v[190:191], v[55:56], s[22:23], -v[190:191]
	v_fma_f64 v[140:141], v[98:99], s[28:29], -v[57:58]
	v_mul_f64 v[212:213], v[114:115], s[28:29]
	v_mul_f64 v[214:215], v[112:113], s[46:47]
	v_fma_f64 v[248:249], v[76:77], s[48:49], v[41:42]
	v_add_f64 v[25:26], v[25:26], v[29:30]
	v_add_f64 v[27:28], v[27:28], v[31:32]
	v_fma_f64 v[29:30], v[126:127], s[28:29], -v[158:159]
	v_fma_f64 v[31:32], v[126:127], s[22:23], v[160:161]
	v_fma_f64 v[158:159], v[126:127], s[22:23], -v[160:161]
	v_fma_f64 v[160:161], v[126:127], s[18:19], v[162:163]
	v_fma_f64 v[162:163], v[126:127], s[18:19], -v[162:163]
	v_fma_f64 v[126:127], v[126:127], s[14:15], -v[164:165]
	v_fma_f64 v[164:165], v[100:101], s[58:59], v[63:64]
	v_add_f64 v[150:151], v[3:4], v[150:151]
	v_add_f64 v[152:153], v[3:4], v[152:153]
	;; [unrolled: 1-line block ×6, first 2 shown]
	v_fma_f64 v[246:247], v[98:99], s[28:29], v[57:58]
	v_add_f64 v[220:221], v[244:245], v[220:221]
	v_add_f64 v[57:58], v[1:2], v[134:135]
	v_fma_f64 v[250:251], v[84:85], s[30:31], v[180:181]
	v_fma_f64 v[240:241], v[82:83], s[28:29], v[182:183]
	v_fma_f64 v[178:179], v[90:91], s[18:19], -v[178:179]
	v_fma_f64 v[244:245], v[92:93], s[44:45], v[59:60]
	v_add_f64 v[21:22], v[21:22], v[25:26]
	v_add_f64 v[23:24], v[23:24], v[27:28]
	v_fma_f64 v[27:28], v[82:83], s[22:23], v[49:50]
	v_fma_f64 v[25:26], v[84:85], s[56:57], v[47:48]
	;; [unrolled: 1-line block ×3, first 2 shown]
	v_add_f64 v[224:225], v[1:2], v[224:225]
	v_add_f64 v[154:155], v[190:191], v[154:155]
	v_mul_f64 v[184:185], v[86:87], s[26:27]
	v_add_f64 v[164:165], v[164:165], v[194:195]
	v_add_f64 v[150:151], v[242:243], v[150:151]
	;; [unrolled: 1-line block ×3, first 2 shown]
	v_fma_f64 v[166:167], v[92:93], s[20:21], v[176:177]
	v_fma_f64 v[242:243], v[70:71], s[14:15], v[35:36]
	v_fma_f64 v[176:177], v[92:93], s[48:49], v[176:177]
	v_mul_f64 v[216:217], v[108:109], s[10:11]
	v_fma_f64 v[194:195], v[72:73], s[54:55], v[33:34]
	v_fma_f64 v[168:169], v[74:75], s[26:27], v[186:187]
	;; [unrolled: 1-line block ×4, first 2 shown]
	v_add_f64 v[158:159], v[3:4], v[158:159]
	v_fma_f64 v[182:183], v[82:83], s[28:29], -v[182:183]
	v_add_f64 v[138:139], v[1:2], v[138:139]
	v_add_f64 v[17:18], v[17:18], v[21:22]
	;; [unrolled: 1-line block ×3, first 2 shown]
	v_fma_f64 v[21:22], v[100:101], s[54:55], v[172:173]
	v_fma_f64 v[23:24], v[98:99], s[14:15], v[174:175]
	;; [unrolled: 1-line block ×3, first 2 shown]
	v_fma_f64 v[174:175], v[98:99], s[14:15], -v[174:175]
	v_add_f64 v[27:28], v[27:28], v[206:207]
	v_add_f64 v[206:207], v[1:2], v[39:40]
	;; [unrolled: 1-line block ×4, first 2 shown]
	v_fma_f64 v[236:237], v[106:107], s[14:15], v[196:197]
	v_add_f64 v[152:153], v[170:171], v[152:153]
	v_fma_f64 v[170:171], v[100:101], s[30:31], v[198:199]
	v_fma_f64 v[196:197], v[106:107], s[14:15], -v[196:197]
	v_fma_f64 v[198:199], v[100:101], s[46:47], v[198:199]
	v_add_f64 v[39:40], v[1:2], v[144:145]
	v_add_f64 v[142:143], v[1:2], v[142:143]
	v_fma_f64 v[59:60], v[92:93], s[52:53], v[59:60]
	v_fma_f64 v[252:253], v[76:77], s[40:41], v[184:185]
	v_mul_f64 v[190:191], v[116:117], s[48:49]
	v_fma_f64 v[41:42], v[76:77], s[20:21], v[41:42]
	v_fma_f64 v[43:44], v[74:75], s[18:19], -v[43:44]
	v_add_f64 v[13:14], v[13:14], v[17:18]
	v_add_f64 v[15:16], v[15:16], v[19:20]
	;; [unrolled: 1-line block ×3, first 2 shown]
	v_fma_f64 v[218:219], v[90:91], s[42:43], v[200:201]
	v_add_f64 v[17:18], v[3:4], v[234:235]
	v_add_f64 v[132:133], v[172:173], v[132:133]
	v_add_f64 v[148:149], v[148:149], v[27:28]
	v_add_f64 v[19:20], v[1:2], v[136:137]
	v_add_f64 v[164:165], v[25:26], v[164:165]
	v_add_f64 v[150:151], v[23:24], v[150:151]
	v_add_f64 v[134:135], v[236:237], v[232:233]
	v_fma_f64 v[232:233], v[45:46], s[54:55], v[208:209]
	v_fma_f64 v[236:237], v[55:56], s[14:15], v[210:211]
	v_add_f64 v[152:153], v[174:175], v[152:153]
	v_add_f64 v[170:171], v[170:171], v[220:221]
	;; [unrolled: 1-line block ×24, first 2 shown]
	v_mul_f64 v[152:153], v[88:89], s[38:39]
	v_mul_f64 v[160:161], v[110:111], s[6:7]
	v_add_f64 v[128:129], v[1:2], v[228:229]
	v_add_f64 v[31:32], v[1:2], v[230:231]
	v_fma_f64 v[162:163], v[100:101], s[50:51], v[216:217]
	v_mul_f64 v[172:173], v[80:81], s[6:7]
	v_fma_f64 v[174:175], v[76:77], s[34:35], v[184:185]
	v_add_f64 v[5:6], v[5:6], v[9:10]
	v_add_f64 v[7:8], v[7:8], v[11:12]
	;; [unrolled: 1-line block ×4, first 2 shown]
	v_fma_f64 v[9:10], v[84:85], s[6:7], v[202:203]
	v_add_f64 v[15:16], v[192:193], v[29:30]
	v_add_f64 v[29:30], v[3:4], v[126:127]
	;; [unrolled: 1-line block ×6, first 2 shown]
	v_fma_f64 v[11:12], v[82:83], s[10:11], v[204:205]
	v_mul_f64 v[148:149], v[86:87], s[36:37]
	v_fma_f64 v[154:155], v[106:107], s[28:29], v[214:215]
	v_add_f64 v[1:2], v[194:195], v[164:165]
	v_mul_f64 v[164:165], v[102:103], s[26:27]
	v_add_f64 v[132:133], v[180:181], v[132:133]
	v_mul_f64 v[178:179], v[80:81], s[20:21]
	v_mul_f64 v[180:181], v[104:105], s[40:41]
	;; [unrolled: 1-line block ×3, first 2 shown]
	v_add_f64 v[144:145], v[182:183], v[144:145]
	v_fma_f64 v[176:177], v[74:75], s[26:27], -v[186:187]
	v_mul_f64 v[182:183], v[94:95], s[18:19]
	v_fma_f64 v[186:187], v[70:71], s[10:11], v[172:173]
	v_add_f64 v[13:14], v[252:253], v[13:14]
	v_add_f64 v[21:22], v[254:255], v[21:22]
	v_add_f64 v[9:10], v[9:10], v[146:147]
	v_add_f64 v[15:16], v[198:199], v[15:16]
	v_fma_f64 v[146:147], v[74:75], s[36:37], v[152:153]
	v_add_f64 v[126:127], v[140:141], v[126:127]
	v_fma_f64 v[140:141], v[90:91], s[42:43], -v[200:201]
	v_add_f64 v[150:151], v[168:169], v[150:151]
	v_mul_f64 v[168:169], v[78:79], s[18:19]
	v_add_f64 v[11:12], v[11:12], v[134:135]
	v_fma_f64 v[134:135], v[76:77], s[58:59], v[148:149]
	v_add_f64 v[17:18], v[154:155], v[17:18]
	v_fma_f64 v[154:155], v[98:99], s[10:11], v[160:161]
	v_mul_f64 v[198:199], v[96:97], s[20:21]
	v_add_f64 v[132:133], v[174:175], v[132:133]
	v_fma_f64 v[174:175], v[45:46], s[12:13], v[208:209]
	v_fma_f64 v[194:195], v[70:71], s[18:19], v[178:179]
	;; [unrolled: 1-line block ×4, first 2 shown]
	v_add_f64 v[144:145], v[176:177], v[144:145]
	v_mul_f64 v[176:177], v[118:119], s[18:19]
	v_fma_f64 v[170:171], v[72:73], s[6:7], v[170:171]
	v_fma_f64 v[172:173], v[70:71], s[10:11], -v[172:173]
	v_add_f64 v[21:22], v[162:163], v[21:22]
	v_fma_f64 v[162:163], v[92:93], s[34:35], v[164:165]
	v_add_f64 v[15:16], v[59:60], v[15:16]
	v_fma_f64 v[59:60], v[84:85], s[50:51], v[202:203]
	v_fma_f64 v[148:149], v[76:77], s[38:39], v[148:149]
	v_add_f64 v[126:127], v[140:141], v[126:127]
	v_fma_f64 v[140:141], v[82:83], s[10:11], -v[204:205]
	v_fma_f64 v[192:193], v[72:73], s[48:49], v[168:169]
	v_add_f64 v[146:147], v[146:147], v[11:12]
	v_add_f64 v[134:135], v[134:135], v[9:10]
	v_mul_f64 v[200:201], v[86:87], s[22:23]
	v_add_f64 v[154:155], v[154:155], v[17:18]
	v_fma_f64 v[202:203], v[53:54], s[46:47], v[212:213]
	v_mul_f64 v[204:205], v[114:115], s[42:43]
	v_add_f64 v[174:175], v[174:175], v[19:20]
	v_fma_f64 v[168:169], v[72:73], s[20:21], v[168:169]
	v_fma_f64 v[160:161], v[98:99], s[10:11], -v[160:161]
	v_add_f64 v[13:14], v[184:185], v[13:14]
	v_fma_f64 v[184:185], v[55:56], s[14:15], -v[210:211]
	v_fma_f64 v[164:165], v[92:93], s[40:41], v[164:165]
	v_add_f64 v[9:10], v[170:171], v[132:133]
	v_add_f64 v[11:12], v[172:173], v[144:145]
	v_fma_f64 v[132:133], v[55:56], s[18:19], v[190:191]
	v_add_f64 v[21:22], v[162:163], v[21:22]
	v_fma_f64 v[162:163], v[84:85], s[48:49], v[182:183]
	v_add_f64 v[59:60], v[59:60], v[15:16]
	v_add_f64 v[15:16], v[186:187], v[150:151]
	v_mul_f64 v[150:151], v[118:119], s[28:29]
	v_add_f64 v[126:127], v[140:141], v[126:127]
	v_fma_f64 v[140:141], v[74:75], s[36:37], -v[152:153]
	v_add_f64 v[19:20], v[194:195], v[146:147]
	v_add_f64 v[17:18], v[192:193], v[134:135]
	v_fma_f64 v[146:147], v[82:83], s[18:19], v[198:199]
	v_add_f64 v[134:135], v[196:197], v[154:155]
	v_mul_f64 v[154:155], v[116:117], s[46:47]
	v_fma_f64 v[152:153], v[45:46], s[20:21], v[176:177]
	v_mul_f64 v[144:145], v[112:113], s[52:53]
	v_mul_f64 v[170:171], v[88:89], s[56:57]
	v_fma_f64 v[176:177], v[45:46], s[48:49], v[176:177]
	v_mul_f64 v[192:193], v[114:115], s[10:11]
	v_add_f64 v[136:137], v[184:185], v[136:137]
	v_fma_f64 v[172:173], v[106:107], s[28:29], -v[214:215]
	v_add_f64 v[174:175], v[202:203], v[174:175]
	v_fma_f64 v[184:185], v[100:101], s[6:7], v[216:217]
	v_add_f64 v[132:133], v[132:133], v[166:167]
	v_mul_f64 v[186:187], v[110:111], s[40:41]
	v_add_f64 v[21:22], v[162:163], v[21:22]
	v_add_f64 v[148:149], v[148:149], v[59:60]
	v_fma_f64 v[162:163], v[76:77], s[24:25], v[200:201]
	v_mul_f64 v[194:195], v[112:113], s[50:51]
	v_mul_f64 v[196:197], v[78:79], s[42:43]
	v_add_f64 v[59:60], v[140:141], v[126:127]
	v_fma_f64 v[126:127], v[70:71], s[18:19], -v[178:179]
	v_fma_f64 v[178:179], v[55:56], s[18:19], -v[190:191]
	v_fma_f64 v[202:203], v[53:54], s[52:53], v[204:205]
	v_add_f64 v[134:135], v[146:147], v[134:135]
	v_fma_f64 v[146:147], v[45:46], s[30:31], v[150:151]
	v_fma_f64 v[190:191], v[55:56], s[28:29], v[154:155]
	v_add_f64 v[140:141], v[152:153], v[156:157]
	v_fma_f64 v[152:153], v[53:54], s[44:45], v[204:205]
	v_mul_f64 v[156:157], v[108:109], s[26:27]
	v_fma_f64 v[166:167], v[106:107], s[42:43], v[144:145]
	v_add_f64 v[176:177], v[176:177], v[206:207]
	v_fma_f64 v[144:145], v[106:107], s[42:43], -v[144:145]
	v_mul_f64 v[206:207], v[108:109], s[18:19]
	v_add_f64 v[136:137], v[172:173], v[136:137]
	v_add_f64 v[172:173], v[184:185], v[174:175]
	v_mul_f64 v[184:185], v[102:103], s[14:15]
	v_mul_f64 v[208:209], v[110:111], s[20:21]
	;; [unrolled: 1-line block ×3, first 2 shown]
	v_add_f64 v[162:163], v[162:163], v[21:22]
	v_fma_f64 v[21:22], v[74:75], s[22:23], v[170:171]
	v_mul_f64 v[204:205], v[104:105], s[12:13]
	v_fma_f64 v[210:211], v[72:73], s[44:45], v[196:197]
	v_fma_f64 v[150:151], v[45:46], s[46:47], v[150:151]
	v_add_f64 v[178:179], v[178:179], v[222:223]
	v_fma_f64 v[154:155], v[55:56], s[28:29], -v[154:155]
	v_mul_f64 v[212:213], v[96:97], s[58:59]
	v_add_f64 v[138:139], v[146:147], v[138:139]
	v_add_f64 v[146:147], v[190:191], v[188:189]
	v_fma_f64 v[188:189], v[53:54], s[6:7], v[192:193]
	v_add_f64 v[140:141], v[152:153], v[140:141]
	v_fma_f64 v[152:153], v[100:101], s[34:35], v[156:157]
	;; [unrolled: 2-line block ×3, first 2 shown]
	v_fma_f64 v[190:191], v[106:107], s[10:11], v[194:195]
	v_add_f64 v[176:177], v[202:203], v[176:177]
	v_add_f64 v[136:137], v[160:161], v[136:137]
	v_fma_f64 v[160:161], v[90:91], s[26:27], -v[180:181]
	v_add_f64 v[164:165], v[164:165], v[172:173]
	v_fma_f64 v[172:173], v[84:85], s[20:21], v[182:183]
	v_mul_f64 v[182:183], v[94:95], s[36:37]
	v_fma_f64 v[156:157], v[100:101], s[40:41], v[156:157]
	v_add_f64 v[134:135], v[21:22], v[134:135]
	v_add_f64 v[21:22], v[168:169], v[148:149]
	v_fma_f64 v[148:149], v[100:101], s[48:49], v[206:207]
	v_fma_f64 v[168:169], v[98:99], s[18:19], v[208:209]
	v_add_f64 v[144:145], v[144:145], v[178:179]
	v_fma_f64 v[178:179], v[98:99], s[26:27], -v[186:187]
	v_mul_f64 v[186:187], v[102:103], s[36:37]
	v_fma_f64 v[180:181], v[70:71], s[42:43], v[174:175]
	v_add_f64 v[142:143], v[150:151], v[142:143]
	v_add_f64 v[138:139], v[188:189], v[138:139]
	v_mul_f64 v[188:189], v[104:105], s[58:59]
	v_add_f64 v[140:141], v[152:153], v[140:141]
	v_fma_f64 v[152:153], v[92:93], s[54:55], v[184:185]
	v_add_f64 v[166:167], v[166:167], v[132:133]
	v_add_f64 v[146:147], v[190:191], v[146:147]
	v_mul_f64 v[190:191], v[94:95], s[42:43]
	v_add_f64 v[132:133], v[210:211], v[162:163]
	v_add_f64 v[136:137], v[160:161], v[136:137]
	v_fma_f64 v[160:161], v[82:83], s[18:19], -v[198:199]
	v_add_f64 v[162:163], v[172:173], v[164:165]
	v_fma_f64 v[164:165], v[76:77], s[56:57], v[200:201]
	v_add_f64 v[156:157], v[156:157], v[176:177]
	v_fma_f64 v[172:173], v[92:93], s[12:13], v[184:185]
	v_mul_f64 v[198:199], v[96:97], s[44:45]
	v_add_f64 v[150:151], v[154:155], v[158:159]
	v_fma_f64 v[154:155], v[53:54], s[50:51], v[192:193]
	v_mul_f64 v[192:193], v[86:87], s[14:15]
	v_add_f64 v[144:145], v[178:179], v[144:145]
	v_fma_f64 v[178:179], v[90:91], s[14:15], -v[204:205]
	v_fma_f64 v[202:203], v[90:91], s[14:15], v[204:205]
	v_add_f64 v[134:135], v[180:181], v[134:135]
	v_add_f64 v[138:139], v[148:149], v[138:139]
	v_fma_f64 v[148:149], v[92:93], s[38:39], v[186:187]
	v_mul_f64 v[180:181], v[86:87], s[10:11]
	v_add_f64 v[140:141], v[152:153], v[140:141]
	v_fma_f64 v[152:153], v[84:85], s[38:39], v[182:183]
	v_add_f64 v[146:147], v[168:169], v[146:147]
	v_fma_f64 v[168:169], v[90:91], s[36:37], v[188:189]
	v_fma_f64 v[158:159], v[106:107], s[10:11], -v[194:195]
	v_mul_f64 v[194:195], v[88:89], s[12:13]
	v_add_f64 v[136:137], v[160:161], v[136:137]
	v_fma_f64 v[160:161], v[74:75], s[22:23], -v[170:171]
	v_add_f64 v[162:163], v[164:165], v[162:163]
	v_mul_f64 v[164:165], v[118:119], s[26:27]
	v_mul_f64 v[170:171], v[116:117], s[34:35]
	;; [unrolled: 1-line block ×4, first 2 shown]
	v_add_f64 v[142:143], v[154:155], v[142:143]
	v_fma_f64 v[154:155], v[100:101], s[20:21], v[206:207]
	v_mul_f64 v[116:117], v[116:117], s[6:7]
	v_add_f64 v[144:145], v[178:179], v[144:145]
	v_add_f64 v[166:167], v[202:203], v[166:167]
	v_mul_f64 v[202:203], v[114:115], s[36:37]
	v_mul_f64 v[114:115], v[114:115], s[18:19]
	v_add_f64 v[138:139], v[148:149], v[138:139]
	v_fma_f64 v[148:149], v[84:85], s[52:53], v[190:191]
	v_mul_f64 v[112:113], v[112:113], s[20:21]
	v_add_f64 v[140:141], v[152:153], v[140:141]
	v_add_f64 v[152:153], v[172:173], v[156:157]
	v_fma_f64 v[156:157], v[84:85], s[58:59], v[182:183]
	v_fma_f64 v[172:173], v[82:83], s[36:37], -v[212:213]
	v_add_f64 v[146:147], v[168:169], v[146:147]
	v_fma_f64 v[168:169], v[82:83], s[42:43], v[198:199]
	v_add_f64 v[150:151], v[158:159], v[150:151]
	v_fma_f64 v[158:159], v[98:99], s[18:19], -v[208:209]
	v_fma_f64 v[176:177], v[82:83], s[36:37], v[212:213]
	v_fma_f64 v[200:201], v[55:56], s[26:27], v[170:171]
	v_fma_f64 v[170:171], v[55:56], s[26:27], -v[170:171]
	v_mul_f64 v[184:185], v[88:89], s[50:51]
	v_mul_f64 v[182:183], v[78:79], s[22:23]
	v_add_f64 v[142:143], v[154:155], v[142:143]
	v_fma_f64 v[154:155], v[92:93], s[58:59], v[186:187]
	v_fma_f64 v[186:187], v[106:107], s[36:37], v[204:205]
	v_add_f64 v[136:137], v[160:161], v[136:137]
	v_mul_f64 v[160:161], v[80:81], s[24:25]
	v_fma_f64 v[196:197], v[72:73], s[52:53], v[196:197]
	v_add_f64 v[138:139], v[148:149], v[138:139]
	v_fma_f64 v[148:149], v[76:77], s[54:55], v[192:193]
	v_add_f64 v[152:153], v[156:157], v[152:153]
	;; [unrolled: 2-line block ×4, first 2 shown]
	v_fma_f64 v[168:169], v[74:75], s[14:15], v[194:195]
	v_fma_f64 v[164:165], v[45:46], s[34:35], v[164:165]
	v_add_f64 v[130:131], v[200:201], v[130:131]
	v_add_f64 v[150:151], v[158:159], v[150:151]
	v_fma_f64 v[158:159], v[90:91], s[36:37], -v[188:189]
	v_mul_f64 v[188:189], v[108:109], s[22:23]
	v_mul_f64 v[108:109], v[108:109], s[42:43]
	v_add_f64 v[142:143], v[154:155], v[142:143]
	v_add_f64 v[57:58], v[170:171], v[57:58]
	;; [unrolled: 1-line block ×3, first 2 shown]
	v_fma_f64 v[176:177], v[76:77], s[6:7], v[180:181]
	v_fma_f64 v[178:179], v[74:75], s[10:11], v[184:185]
	v_fma_f64 v[180:181], v[74:75], s[10:11], -v[184:185]
	v_mul_f64 v[184:185], v[78:79], s[26:27]
	v_add_f64 v[138:139], v[148:149], v[138:139]
	v_fma_f64 v[148:149], v[45:46], s[50:51], v[118:119]
	v_fma_f64 v[118:119], v[45:46], s[6:7], v[118:119]
	;; [unrolled: 1-line block ×3, first 2 shown]
	v_add_f64 v[128:129], v[156:157], v[128:129]
	v_fma_f64 v[156:157], v[53:54], s[58:59], v[202:203]
	v_add_f64 v[152:153], v[172:173], v[152:153]
	v_mul_f64 v[172:173], v[110:111], s[56:57]
	v_add_f64 v[146:147], v[168:169], v[146:147]
	v_fma_f64 v[168:169], v[55:56], s[10:11], v[116:117]
	v_fma_f64 v[116:117], v[55:56], s[10:11], -v[116:117]
	v_add_f64 v[130:131], v[186:187], v[130:131]
	v_fma_f64 v[55:56], v[55:56], s[42:43], -v[124:125]
	v_mul_f64 v[110:111], v[110:111], s[52:53]
	v_add_f64 v[150:151], v[158:159], v[150:151]
	v_mul_f64 v[124:125], v[102:103], s[10:11]
	v_add_f64 v[39:40], v[164:165], v[39:40]
	v_fma_f64 v[158:159], v[53:54], s[38:39], v[202:203]
	v_fma_f64 v[164:165], v[106:107], s[36:37], -v[204:205]
	v_mul_f64 v[102:103], v[102:103], s[22:23]
	v_fma_f64 v[154:155], v[100:101], s[24:25], v[188:189]
	v_mul_f64 v[200:201], v[80:81], s[34:35]
	v_add_f64 v[140:141], v[176:177], v[140:141]
	v_add_f64 v[31:32], v[148:149], v[31:32]
	v_fma_f64 v[148:149], v[53:54], s[48:49], v[114:115]
	v_add_f64 v[23:24], v[45:46], v[23:24]
	v_fma_f64 v[45:46], v[53:54], s[40:41], v[67:68]
	v_add_f64 v[128:129], v[156:157], v[128:129]
	v_mul_f64 v[156:157], v[104:105], s[50:51]
	v_fma_f64 v[122:123], v[98:99], s[22:23], v[172:173]
	v_fma_f64 v[114:115], v[53:54], s[20:21], v[114:115]
	v_add_f64 v[37:38], v[168:169], v[37:38]
	v_fma_f64 v[168:169], v[106:107], s[18:19], v[112:113]
	v_add_f64 v[29:30], v[116:117], v[29:30]
	v_fma_f64 v[112:113], v[106:107], s[18:19], -v[112:113]
	v_fma_f64 v[116:117], v[84:85], s[44:45], v[190:191]
	v_add_f64 v[25:26], v[55:56], v[25:26]
	v_fma_f64 v[53:54], v[106:107], s[26:27], -v[120:121]
	v_mul_f64 v[104:105], v[104:105], s[24:25]
	v_fma_f64 v[120:121], v[100:101], s[56:57], v[188:189]
	v_add_f64 v[27:28], v[118:119], v[27:28]
	v_add_f64 v[57:58], v[164:165], v[57:58]
	v_fma_f64 v[67:68], v[92:93], s[6:7], v[124:125]
	v_add_f64 v[39:40], v[158:159], v[39:40]
	v_fma_f64 v[118:119], v[82:83], s[42:43], -v[198:199]
	v_add_f64 v[166:167], v[178:179], v[166:167]
	v_add_f64 v[31:32], v[148:149], v[31:32]
	v_fma_f64 v[148:149], v[98:99], s[42:43], v[110:111]
	v_add_f64 v[23:24], v[45:46], v[23:24]
	v_fma_f64 v[45:46], v[100:101], s[38:39], v[63:64]
	v_fma_f64 v[106:107], v[90:91], s[10:11], v[156:157]
	v_add_f64 v[55:56], v[122:123], v[130:131]
	v_fma_f64 v[130:131], v[100:101], s[44:45], v[108:109]
	v_fma_f64 v[110:111], v[98:99], s[42:43], -v[110:111]
	v_fma_f64 v[108:109], v[100:101], s[52:53], v[108:109]
	v_fma_f64 v[100:101], v[92:93], s[56:57], v[102:103]
	v_add_f64 v[29:30], v[112:113], v[29:30]
	v_add_f64 v[112:113], v[116:117], v[142:143]
	v_mul_f64 v[116:117], v[96:97], s[12:13]
	v_mul_f64 v[96:97], v[96:97], s[34:35]
	v_fma_f64 v[122:123], v[98:99], s[22:23], -v[172:173]
	v_add_f64 v[37:38], v[168:169], v[37:38]
	v_add_f64 v[27:28], v[114:115], v[27:28]
	;; [unrolled: 1-line block ×4, first 2 shown]
	v_fma_f64 v[53:54], v[98:99], s[36:37], -v[65:66]
	v_mul_f64 v[114:115], v[94:95], s[14:15]
	v_fma_f64 v[98:99], v[90:91], s[10:11], -v[156:157]
	v_mul_f64 v[94:95], v[94:95], s[26:27]
	v_fma_f64 v[102:103], v[92:93], s[24:25], v[102:103]
	v_add_f64 v[39:40], v[120:121], v[39:40]
	v_add_f64 v[23:24], v[45:46], v[23:24]
	v_fma_f64 v[45:46], v[92:93], s[30:31], v[51:52]
	v_add_f64 v[55:56], v[106:107], v[55:56]
	v_add_f64 v[31:32], v[130:131], v[31:32]
	v_fma_f64 v[106:107], v[90:91], s[22:23], v[104:105]
	v_fma_f64 v[104:105], v[90:91], s[22:23], -v[104:105]
	v_fma_f64 v[51:52], v[90:91], s[28:29], -v[61:62]
	v_add_f64 v[29:30], v[110:111], v[29:30]
	v_add_f64 v[63:64], v[118:119], v[150:151]
	v_fma_f64 v[110:111], v[82:83], s[14:15], v[116:117]
	v_mul_f64 v[118:119], v[86:87], s[42:43]
	v_add_f64 v[57:58], v[122:123], v[57:58]
	v_add_f64 v[37:38], v[148:149], v[37:38]
	;; [unrolled: 1-line block ×4, first 2 shown]
	v_fma_f64 v[67:68], v[92:93], s[50:51], v[124:125]
	v_add_f64 v[25:26], v[53:54], v[25:26]
	v_fma_f64 v[108:109], v[84:85], s[54:55], v[114:115]
	v_mul_f64 v[90:91], v[88:89], s[52:53]
	v_fma_f64 v[92:93], v[82:83], s[14:15], -v[116:117]
	v_mul_f64 v[86:87], v[86:87], s[28:29]
	v_mul_f64 v[88:89], v[88:89], s[30:31]
	v_fma_f64 v[53:54], v[76:77], s[12:13], v[192:193]
	v_add_f64 v[23:24], v[45:46], v[23:24]
	v_fma_f64 v[45:46], v[84:85], s[24:25], v[47:48]
	v_add_f64 v[31:32], v[100:101], v[31:32]
	v_fma_f64 v[100:101], v[82:83], s[26:27], v[96:97]
	v_fma_f64 v[96:97], v[82:83], s[26:27], -v[96:97]
	v_fma_f64 v[47:48], v[82:83], s[22:23], -v[49:50]
	v_add_f64 v[29:30], v[104:105], v[29:30]
	v_mul_f64 v[82:83], v[80:81], s[30:31]
	v_add_f64 v[55:56], v[110:111], v[55:56]
	v_mul_f64 v[80:81], v[80:81], s[58:59]
	v_add_f64 v[57:58], v[98:99], v[57:58]
	v_add_f64 v[37:38], v[106:107], v[37:38]
	v_fma_f64 v[98:99], v[84:85], s[40:41], v[94:95]
	v_add_f64 v[27:28], v[102:103], v[27:28]
	v_fma_f64 v[94:95], v[84:85], s[34:35], v[94:95]
	;; [unrolled: 2-line block ×3, first 2 shown]
	v_add_f64 v[25:26], v[51:52], v[25:26]
	v_add_f64 v[65:66], v[108:109], v[65:66]
	v_fma_f64 v[102:103], v[76:77], s[44:45], v[118:119]
	v_fma_f64 v[49:50], v[74:75], s[42:43], v[90:91]
	v_mul_f64 v[51:52], v[78:79], s[28:29]
	v_fma_f64 v[84:85], v[74:75], s[42:43], -v[90:91]
	v_add_f64 v[23:24], v[45:46], v[23:24]
	v_fma_f64 v[90:91], v[76:77], s[46:47], v[86:87]
	v_mul_f64 v[78:79], v[78:79], s[36:37]
	v_fma_f64 v[61:62], v[74:75], s[14:15], -v[194:195]
	v_fma_f64 v[86:87], v[76:77], s[30:31], v[86:87]
	v_add_f64 v[29:30], v[96:97], v[29:30]
	v_fma_f64 v[176:177], v[72:73], s[56:57], v[182:183]
	v_fma_f64 v[178:179], v[70:71], s[22:23], v[160:161]
	v_add_f64 v[144:145], v[180:181], v[144:145]
	v_add_f64 v[57:58], v[92:93], v[57:58]
	;; [unrolled: 1-line block ×4, first 2 shown]
	v_fma_f64 v[92:93], v[74:75], s[28:29], v[88:89]
	v_add_f64 v[27:28], v[94:95], v[27:28]
	v_fma_f64 v[88:89], v[74:75], s[28:29], -v[88:89]
	v_add_f64 v[39:40], v[67:68], v[39:40]
	v_fma_f64 v[67:68], v[76:77], s[52:53], v[118:119]
	v_add_f64 v[45:46], v[47:48], v[25:26]
	v_fma_f64 v[180:181], v[72:73], s[24:25], v[182:183]
	v_fma_f64 v[182:183], v[72:73], s[40:41], v[184:185]
	;; [unrolled: 1-line block ×3, first 2 shown]
	v_add_f64 v[53:54], v[53:54], v[112:113]
	v_add_f64 v[96:97], v[41:42], v[23:24]
	buffer_load_dword v23, off, s[64:67], 0 ; 4-byte Folded Reload
	v_fma_f64 v[47:48], v[72:73], s[34:35], v[184:185]
	v_add_f64 v[65:66], v[102:103], v[65:66]
	v_add_f64 v[49:50], v[49:50], v[55:56]
	v_fma_f64 v[55:56], v[72:73], s[46:47], v[51:52]
	v_fma_f64 v[74:75], v[70:71], s[28:29], v[82:83]
	v_add_f64 v[61:62], v[61:62], v[63:64]
	v_fma_f64 v[63:64], v[70:71], s[26:27], -v[200:201]
	v_add_f64 v[57:58], v[84:85], v[57:58]
	v_fma_f64 v[51:52], v[72:73], s[30:31], v[51:52]
	v_add_f64 v[76:77], v[90:91], v[31:32]
	v_add_f64 v[84:85], v[92:93], v[37:38]
	v_fma_f64 v[90:91], v[72:73], s[38:39], v[78:79]
	v_fma_f64 v[92:93], v[70:71], s[36:37], v[80:81]
	v_add_f64 v[27:28], v[86:87], v[27:28]
	v_add_f64 v[86:87], v[88:89], v[29:30]
	v_fma_f64 v[78:79], v[72:73], s[58:59], v[78:79]
	v_fma_f64 v[80:81], v[70:71], s[36:37], -v[80:81]
	v_add_f64 v[67:68], v[67:68], v[39:40]
	v_fma_f64 v[82:83], v[70:71], s[28:29], -v[82:83]
	v_fma_f64 v[160:161], v[70:71], s[22:23], -v[160:161]
	;; [unrolled: 1-line block ×3, first 2 shown]
	v_add_f64 v[98:99], v[43:44], v[45:46]
	v_fma_f64 v[100:101], v[72:73], s[12:13], v[33:34]
	v_fma_f64 v[70:71], v[70:71], s[14:15], -v[35:36]
	v_add_f64 v[29:30], v[176:177], v[140:141]
	v_add_f64 v[31:32], v[178:179], v[166:167]
	;; [unrolled: 1-line block ×11, first 2 shown]
	v_mul_u32_u24_e32 v65, 0x770, v0
	v_add_f64 v[25:26], v[196:197], v[162:163]
	v_add_f64 v[61:62], v[78:79], v[27:28]
	;; [unrolled: 1-line block ×8, first 2 shown]
	s_waitcnt vmcnt(0)
	v_lshlrev_b32_e32 v72, 4, v23
	v_add_f64 v[23:24], v[126:127], v[59:60]
	v_add_f64 v[59:60], v[70:71], v[98:99]
	v_add3_u32 v65, 0, v65, v72
	ds_write_b128 v65, v[5:8]
	ds_write_b128 v65, v[1:4] offset:112
	ds_write_b128 v65, v[13:16] offset:224
	;; [unrolled: 1-line block ×16, first 2 shown]
	s_waitcnt lgkmcnt(0)
	s_waitcnt_vscnt null, 0x0
	s_barrier
	buffer_gl0_inv
	s_and_saveexec_b32 s60, s33
	s_cbranch_execz .LBB0_18
; %bb.17:
	v_mul_hi_u32 v1, 0xf0f0f10, v0
	v_mul_lo_u32 v97, 0xffffffef, v69
	s_add_i32 s33, 0, 0x7e70
	v_mul_u32_u24_e32 v1, 17, v1
	v_sub_nc_u32_e32 v255, v0, v1
	v_mul_u32_u24_e32 v0, 0x70, v0
	v_add_nc_u32_e32 v1, 0x110, v255
	v_add3_u32 v0, 0, v0, v72
	v_mul_lo_u32 v1, v1, v69
	v_lshrrev_b32_e32 v3, 1, v1
	v_add_nc_u32_e32 v2, v1, v97
	v_and_b32_e32 v4, 31, v1
	v_lshrrev_b32_e32 v1, 6, v1
	v_and_b32_e32 v3, 0x1f0, v3
	v_lshrrev_b32_e32 v5, 1, v2
	v_and_b32_e32 v6, 31, v2
	v_add_nc_u32_e32 v7, v2, v97
	v_and_b32_e32 v1, 0x1f0, v1
	v_lshrrev_b32_e32 v2, 6, v2
	v_add_nc_u32_e32 v8, s33, v3
	v_and_b32_e32 v3, 0x1f0, v5
	v_lshl_add_u32 v4, v4, 4, 0
	v_lshl_add_u32 v5, v6, 4, 0
	v_add_nc_u32_e32 v6, v7, v97
	v_add_nc_u32_e32 v1, s33, v1
	v_and_b32_e32 v11, 0x1f0, v2
	v_add_nc_u32_e32 v12, s33, v3
	v_lshrrev_b32_e32 v9, 1, v7
	v_and_b32_e32 v10, 31, v7
	v_lshrrev_b32_e32 v7, 6, v7
	v_lshrrev_b32_e32 v13, 1, v6
	ds_read_b128 v[17:20], v4 offset:32368
	ds_read_b128 v[1:4], v1 offset:1024
	;; [unrolled: 1-line block ×4, first 2 shown]
	v_add_nc_u32_e32 v11, s33, v11
	v_and_b32_e32 v9, 0x1f0, v9
	v_and_b32_e32 v14, 31, v6
	;; [unrolled: 1-line block ×3, first 2 shown]
	v_add_nc_u32_e32 v15, v6, v97
	v_lshrrev_b32_e32 v25, 6, v6
	v_and_b32_e32 v12, 0x1f0, v13
	ds_read_b128 v[53:56], v8 offset:512
	ds_read_b128 v[5:8], v11 offset:1024
	v_lshl_add_u32 v10, v10, 4, 0
	v_add_nc_u32_e32 v9, s33, v9
	v_lshl_add_u32 v13, v14, 4, 0
	v_add_nc_u32_e32 v11, s33, v16
	v_and_b32_e32 v16, 0x1f0, v25
	v_add_nc_u32_e32 v25, s33, v12
	ds_read_b128 v[57:60], v9 offset:512
	ds_read_b128 v[61:64], v10 offset:32368
	;; [unrolled: 1-line block ×5, first 2 shown]
	v_lshrrev_b32_e32 v14, 1, v15
	s_waitcnt lgkmcnt(7)
	v_mul_f64 v[73:74], v[23:24], v[39:40]
	v_mul_f64 v[39:40], v[21:22], v[39:40]
	v_add_nc_u32_e32 v26, v15, v97
	v_and_b32_e32 v27, 31, v15
	v_and_b32_e32 v14, 0x1f0, v14
	v_lshrrev_b32_e32 v15, 6, v15
	v_add_nc_u32_e32 v16, s33, v16
	s_waitcnt lgkmcnt(6)
	v_mul_f64 v[70:71], v[19:20], v[55:56]
	v_mul_f64 v[55:56], v[17:18], v[55:56]
	v_lshrrev_b32_e32 v28, 1, v26
	v_lshl_add_u32 v27, v27, 4, 0
	v_add_nc_u32_e32 v33, s33, v14
	v_add_nc_u32_e32 v91, v26, v97
	v_and_b32_e32 v29, 31, v26
	v_and_b32_e32 v30, 0x1f0, v15
	v_lshrrev_b32_e32 v31, 6, v26
	v_and_b32_e32 v32, 0x1f0, v28
	ds_read_b128 v[25:28], v27 offset:32368
	ds_read_b128 v[13:16], v16 offset:1024
	s_waitcnt lgkmcnt(5)
	v_mul_f64 v[75:76], v[63:64], v[59:60]
	v_mul_f64 v[59:60], v[61:62], v[59:60]
	ds_read_b128 v[33:36], v33 offset:512
	s_waitcnt lgkmcnt(3)
	v_mul_f64 v[81:82], v[67:68], v[89:90]
	v_mul_f64 v[89:90], v[65:66], v[89:90]
	v_add_nc_u32_e32 v92, v91, v97
	v_lshrrev_b32_e32 v41, 1, v91
	v_fma_f64 v[79:80], v[23:24], v[37:38], v[39:40]
	v_and_b32_e32 v42, 31, v91
	v_add_nc_u32_e32 v93, s33, v30
	v_lshrrev_b32_e32 v39, 1, v92
	v_fma_f64 v[83:84], v[17:18], v[53:54], -v[70:71]
	v_fma_f64 v[85:86], v[19:20], v[53:54], v[55:56]
	v_and_b32_e32 v53, 31, v92
	v_and_b32_e32 v30, 0x1f0, v41
	;; [unrolled: 1-line block ×4, first 2 shown]
	v_lshl_add_u32 v29, v29, 4, 0
	v_lshl_add_u32 v41, v42, 4, 0
	;; [unrolled: 1-line block ×3, first 2 shown]
	v_add_nc_u32_e32 v32, s33, v32
	v_add_nc_u32_e32 v42, s33, v30
	;; [unrolled: 1-line block ×4, first 2 shown]
	v_fma_f64 v[77:78], v[21:22], v[37:38], -v[73:74]
	s_waitcnt lgkmcnt(0)
	v_mul_f64 v[37:38], v[27:28], v[35:36]
	ds_read_b128 v[45:48], v29 offset:32368
	ds_read_b128 v[49:52], v32 offset:512
	;; [unrolled: 1-line block ×4, first 2 shown]
	v_fma_f64 v[73:74], v[61:62], v[57:58], -v[75:76]
	v_fma_f64 v[75:76], v[63:64], v[57:58], v[59:60]
	ds_read_b128 v[21:24], v93 offset:1024
	ds_read_b128 v[17:20], v94 offset:1024
	v_fma_f64 v[81:82], v[65:66], v[87:88], -v[81:82]
	v_fma_f64 v[87:88], v[67:68], v[87:88], v[89:90]
	ds_read_b128 v[57:60], v53 offset:32368
	ds_read_b128 v[65:68], v55 offset:512
	v_mul_f64 v[35:36], v[25:26], v[35:36]
	v_add_nc_u32_e32 v40, v92, v97
	v_lshrrev_b32_e32 v61, 6, v92
	v_lshrrev_b32_e32 v54, 1, v40
	v_and_b32_e32 v56, 31, v40
	v_add_nc_u32_e32 v39, v40, v97
	v_lshrrev_b32_e32 v40, 6, v40
	v_and_b32_e32 v61, 0x1f0, v61
	v_and_b32_e32 v54, 0x1f0, v54
	v_lshl_add_u32 v53, v56, 4, 0
	v_fma_f64 v[123:124], v[25:26], v[33:34], -v[37:38]
	s_waitcnt lgkmcnt(6)
	v_mul_f64 v[70:71], v[47:48], v[51:52]
	v_lshrrev_b32_e32 v55, 1, v39
	v_add_nc_u32_e32 v54, s33, v54
	ds_read_b128 v[98:101], v53 offset:32368
	v_lshrrev_b32_e32 v89, 6, v39
	s_waitcnt lgkmcnt(1)
	v_mul_f64 v[25:26], v[59:60], v[67:68]
	v_lshrrev_b32_e32 v56, 6, v91
	ds_read_b128 v[102:105], v54 offset:512
	v_fma_f64 v[33:34], v[27:28], v[33:34], v[35:36]
	v_mul_f64 v[27:28], v[57:58], v[67:68]
	v_and_b32_e32 v53, 31, v39
	v_and_b32_e32 v40, 0x1f0, v40
	;; [unrolled: 1-line block ×4, first 2 shown]
	v_mul_f64 v[51:52], v[45:46], v[51:52]
	v_and_b32_e32 v56, 0x1f0, v56
	v_lshl_add_u32 v53, v53, 4, 0
	v_add_nc_u32_e32 v37, s33, v40
	v_add_nc_u32_e32 v54, s33, v55
	;; [unrolled: 1-line block ×4, first 2 shown]
	v_mul_f64 v[114:115], v[31:32], v[43:44]
	v_add_nc_u32_e32 v56, s33, v61
	ds_read_b128 v[106:109], v53 offset:32368
	ds_read_b128 v[110:113], v54 offset:512
	;; [unrolled: 1-line block ×4, first 2 shown]
	v_mul_f64 v[43:44], v[29:30], v[43:44]
	ds_read_b128 v[89:92], v37 offset:1024
	ds_read_b128 v[93:96], v38 offset:1024
	v_fma_f64 v[25:26], v[57:58], v[65:66], -v[25:26]
	s_waitcnt lgkmcnt(6)
	v_mul_f64 v[67:68], v[100:101], v[104:105]
	v_fma_f64 v[35:36], v[45:46], v[49:50], -v[70:71]
	v_mul_f64 v[45:46], v[98:99], v[104:105]
	buffer_store_dword v25, off, s[64:67], 0 offset:200 ; 4-byte Folded Spill
	buffer_store_dword v26, off, s[64:67], 0 offset:204 ; 4-byte Folded Spill
	v_fma_f64 v[25:26], v[59:60], v[65:66], v[27:28]
	v_add_nc_u32_e32 v39, v39, v97
	v_fma_f64 v[37:38], v[47:48], v[49:50], v[51:52]
	v_fma_f64 v[169:170], v[29:30], v[41:42], -v[114:115]
	v_fma_f64 v[171:172], v[31:32], v[41:42], v[43:44]
	v_fma_f64 v[43:44], v[98:99], v[102:103], -v[67:68]
	v_lshrrev_b32_e32 v40, 1, v39
	v_and_b32_e32 v49, 31, v39
	v_fma_f64 v[45:46], v[100:101], v[102:103], v[45:46]
	s_waitcnt lgkmcnt(4)
	v_mul_f64 v[47:48], v[108:109], v[112:113]
	v_mul_f64 v[41:42], v[106:107], v[112:113]
	v_and_b32_e32 v40, 0x1f0, v40
	v_lshl_add_u32 v29, v49, 4, 0
	buffer_store_dword v25, off, s[64:67], 0 offset:208 ; 4-byte Folded Spill
	buffer_store_dword v26, off, s[64:67], 0 offset:212 ; 4-byte Folded Spill
	v_add_nc_u32_e32 v30, s33, v40
	ds_read_b128 v[25:28], v29 offset:32368
	ds_read_b128 v[29:32], v30 offset:512
	buffer_store_dword v43, off, s[64:67], 0 offset:128 ; 4-byte Folded Spill
	buffer_store_dword v44, off, s[64:67], 0 offset:132 ; 4-byte Folded Spill
	;; [unrolled: 1-line block ×4, first 2 shown]
	v_fma_f64 v[46:47], v[106:107], v[110:111], -v[47:48]
	v_fma_f64 v[41:42], v[108:109], v[110:111], v[41:42]
	v_add_nc_u32_e32 v40, v39, v97
	v_lshrrev_b32_e32 v39, 6, v39
	buffer_store_dword v46, off, s[64:67], 0 offset:96 ; 4-byte Folded Spill
	buffer_store_dword v47, off, s[64:67], 0 offset:100 ; 4-byte Folded Spill
	s_waitcnt lgkmcnt(0)
	v_mul_f64 v[65:66], v[27:28], v[31:32]
	v_lshrrev_b32_e32 v43, 1, v40
	v_lshrrev_b32_e32 v44, 6, v40
	v_and_b32_e32 v45, 31, v40
	v_and_b32_e32 v39, 0x1f0, v39
	v_mul_f64 v[31:32], v[25:26], v[31:32]
	v_and_b32_e32 v43, 0x1f0, v43
	v_and_b32_e32 v44, 0x1f0, v44
	v_lshl_add_u32 v45, v45, 4, 0
	v_add_nc_u32_e32 v39, s33, v39
	buffer_store_dword v41, off, s[64:67], 0 offset:104 ; 4-byte Folded Spill
	buffer_store_dword v42, off, s[64:67], 0 offset:108 ; 4-byte Folded Spill
	v_add_nc_u32_e32 v43, s33, v43
	v_add_nc_u32_e32 v44, s33, v44
	ds_read_b128 v[49:52], v45 offset:32368
	ds_read_b128 v[57:60], v43 offset:512
	ds_read_b128 v[45:48], v39 offset:1024
	ds_read_b128 v[239:242], v44 offset:1024
	v_add_nc_u32_e32 v39, v40, v97
	v_lshrrev_b32_e32 v40, 1, v39
	v_fma_f64 v[25:26], v[25:26], v[29:30], -v[65:66]
	buffer_store_dword v25, off, s[64:67], 0 offset:112 ; 4-byte Folded Spill
	buffer_store_dword v26, off, s[64:67], 0 offset:116 ; 4-byte Folded Spill
	s_waitcnt lgkmcnt(2)
	v_mul_f64 v[67:68], v[51:52], v[59:60]
	v_fma_f64 v[25:26], v[27:28], v[29:30], v[31:32]
	v_and_b32_e32 v40, 0x1f0, v40
	v_and_b32_e32 v41, 31, v39
	v_mul_f64 v[59:60], v[49:50], v[59:60]
	buffer_store_dword v25, off, s[64:67], 0 offset:120 ; 4-byte Folded Spill
	buffer_store_dword v26, off, s[64:67], 0 offset:124 ; 4-byte Folded Spill
	v_add_nc_u32_e32 v40, s33, v40
	v_lshl_add_u32 v41, v41, 4, 0
	v_fma_f64 v[42:43], v[49:50], v[57:58], -v[67:68]
	ds_read_b128 v[25:28], v40 offset:512
	ds_read_b128 v[29:32], v41 offset:32368
	buffer_store_dword v42, off, s[64:67], 0 offset:216 ; 4-byte Folded Spill
	buffer_store_dword v43, off, s[64:67], 0 offset:220 ; 4-byte Folded Spill
	v_fma_f64 v[42:43], v[51:52], v[57:58], v[59:60]
	s_waitcnt lgkmcnt(0)
	v_mul_f64 v[65:66], v[31:32], v[27:28]
	v_mul_f64 v[27:28], v[29:30], v[27:28]
	v_add_nc_u32_e32 v40, v39, v97
	v_lshrrev_b32_e32 v39, 6, v39
	buffer_store_dword v42, off, s[64:67], 0 offset:224 ; 4-byte Folded Spill
	buffer_store_dword v43, off, s[64:67], 0 offset:228 ; 4-byte Folded Spill
	v_lshrrev_b32_e32 v41, 6, v40
	v_and_b32_e32 v39, 0x1f0, v39
	v_and_b32_e32 v41, 0x1f0, v41
	v_add_nc_u32_e32 v39, s33, v39
	v_add_nc_u32_e32 v41, s33, v41
	ds_read_b128 v[57:60], v39 offset:1024
	ds_read_b128 v[49:52], v41 offset:1024
	v_fma_f64 v[41:42], v[29:30], v[25:26], -v[65:66]
	v_fma_f64 v[25:26], v[31:32], v[25:26], v[27:28]
	buffer_store_dword v41, off, s[64:67], 0 offset:232 ; 4-byte Folded Spill
	buffer_store_dword v42, off, s[64:67], 0 offset:236 ; 4-byte Folded Spill
	;; [unrolled: 1-line block ×4, first 2 shown]
	v_lshrrev_b32_e32 v25, 1, v40
	v_and_b32_e32 v26, 31, v40
	v_and_b32_e32 v25, 0x1f0, v25
	v_lshl_add_u32 v26, v26, 4, 0
	v_add_nc_u32_e32 v29, s33, v25
	ds_read_b128 v[25:28], v26 offset:32368
	ds_read_b128 v[29:32], v29 offset:512
	s_waitcnt lgkmcnt(0)
	v_mul_f64 v[65:66], v[27:28], v[31:32]
	v_fma_f64 v[41:42], v[25:26], v[29:30], -v[65:66]
	v_mul_f64 v[25:26], v[25:26], v[31:32]
	buffer_store_dword v41, off, s[64:67], 0 offset:184 ; 4-byte Folded Spill
	buffer_store_dword v42, off, s[64:67], 0 offset:188 ; 4-byte Folded Spill
	v_fma_f64 v[25:26], v[27:28], v[29:30], v[25:26]
	buffer_store_dword v25, off, s[64:67], 0 offset:192 ; 4-byte Folded Spill
	buffer_store_dword v26, off, s[64:67], 0 offset:196 ; 4-byte Folded Spill
	v_add_nc_u32_e32 v25, v40, v97
	v_add_nc_u32_e32 v26, v25, v97
	v_lshrrev_b32_e32 v27, 1, v25
	v_lshrrev_b32_e32 v28, 6, v25
	v_and_b32_e32 v25, 31, v25
	v_lshrrev_b32_e32 v29, 6, v26
	v_and_b32_e32 v27, 0x1f0, v27
	v_and_b32_e32 v28, 0x1f0, v28
	v_lshl_add_u32 v25, v25, 4, 0
	v_and_b32_e32 v29, 0x1f0, v29
	v_add_nc_u32_e32 v27, s33, v27
	v_add_nc_u32_e32 v28, s33, v28
	;; [unrolled: 1-line block ×3, first 2 shown]
	ds_read_b128 v[29:32], v27 offset:512
	ds_read_b128 v[97:100], v25 offset:32368
	;; [unrolled: 1-line block ×4, first 2 shown]
	v_mul_lo_u32 v25, v255, v69
	s_waitcnt lgkmcnt(2)
	v_mul_f64 v[70:71], v[99:100], v[31:32]
	v_mul_f64 v[31:32], v[97:98], v[31:32]
	v_fma_f64 v[27:28], v[97:98], v[29:30], -v[70:71]
	buffer_store_dword v27, off, s[64:67], 0 offset:600 ; 4-byte Folded Spill
	buffer_store_dword v28, off, s[64:67], 0 offset:604 ; 4-byte Folded Spill
	v_fma_f64 v[27:28], v[99:100], v[29:30], v[31:32]
	buffer_store_dword v27, off, s[64:67], 0 offset:608 ; 4-byte Folded Spill
	buffer_store_dword v28, off, s[64:67], 0 offset:612 ; 4-byte Folded Spill
	v_lshrrev_b32_e32 v27, 1, v25
	v_lshrrev_b32_e32 v28, 6, v25
	v_and_b32_e32 v25, 31, v25
	v_and_b32_e32 v27, 0x1f0, v27
	;; [unrolled: 1-line block ×3, first 2 shown]
	v_lshl_add_u32 v25, v25, 4, 0
	v_add_nc_u32_e32 v27, s33, v27
	v_add_nc_u32_e32 v28, s33, v28
	ds_read_b128 v[97:100], v27 offset:512
	ds_read_b128 v[101:104], v25 offset:32368
	;; [unrolled: 1-line block ×3, first 2 shown]
	v_lshrrev_b32_e32 v25, 1, v26
	v_and_b32_e32 v26, 31, v26
	v_and_b32_e32 v25, 0x1f0, v25
	v_lshl_add_u32 v26, v26, 4, 0
	v_add_nc_u32_e32 v25, s33, v25
	s_waitcnt lgkmcnt(1)
	v_mul_f64 v[69:70], v[103:104], v[99:100]
	v_fma_f64 v[27:28], v[101:102], v[97:98], -v[69:70]
	v_mul_f64 v[69:70], v[101:102], v[99:100]
	buffer_store_dword v27, off, s[64:67], 0 offset:144 ; 4-byte Folded Spill
	buffer_store_dword v28, off, s[64:67], 0 offset:148 ; 4-byte Folded Spill
	v_fma_f64 v[27:28], v[103:104], v[97:98], v[69:70]
	buffer_store_dword v27, off, s[64:67], 0 offset:136 ; 4-byte Folded Spill
	buffer_store_dword v28, off, s[64:67], 0 offset:140 ; 4-byte Folded Spill
	ds_read_b128 v[97:100], v26 offset:32368
	ds_read_b128 v[101:104], v25 offset:512
	s_waitcnt lgkmcnt(0)
	v_mul_f64 v[69:70], v[99:100], v[103:104]
	v_fma_f64 v[25:26], v[97:98], v[101:102], -v[69:70]
	v_mul_f64 v[69:70], v[97:98], v[103:104]
	buffer_store_dword v25, off, s[64:67], 0 offset:152 ; 4-byte Folded Spill
	buffer_store_dword v26, off, s[64:67], 0 offset:156 ; 4-byte Folded Spill
	v_fma_f64 v[25:26], v[99:100], v[101:102], v[69:70]
	buffer_store_dword v25, off, s[64:67], 0 offset:72 ; 4-byte Folded Spill
	buffer_store_dword v26, off, s[64:67], 0 offset:76 ; 4-byte Folded Spill
	v_lshlrev_b32_e32 v25, 8, v255
	global_load_dwordx4 v[69:72], v25, s[16:17] offset:112
	ds_read_b128 v[97:100], v0 offset:15232
	ds_read_b128 v[101:104], v0 offset:17136
	global_load_dwordx4 v[105:108], v25, s[16:17] offset:96
	s_waitcnt vmcnt(1) lgkmcnt(1)
	v_mul_f64 v[109:110], v[97:98], v[71:72]
	v_mul_f64 v[71:72], v[99:100], v[71:72]
	v_fma_f64 v[125:126], v[99:100], v[69:70], v[109:110]
	v_fma_f64 v[129:130], v[97:98], v[69:70], -v[71:72]
	s_clause 0x1
	global_load_dwordx4 v[69:72], v25, s[16:17] offset:128
	global_load_dwordx4 v[97:100], v25, s[16:17] offset:144
	s_waitcnt vmcnt(1) lgkmcnt(0)
	v_mul_f64 v[109:110], v[101:102], v[71:72]
	v_mul_f64 v[71:72], v[103:104], v[71:72]
	v_fma_f64 v[127:128], v[103:104], v[69:70], v[109:110]
	v_fma_f64 v[131:132], v[101:102], v[69:70], -v[71:72]
	ds_read_b128 v[69:72], v0 offset:13328
	ds_read_b128 v[101:104], v0 offset:11424
	s_waitcnt lgkmcnt(1)
	v_mul_f64 v[109:110], v[69:70], v[107:108]
	v_fma_f64 v[137:138], v[71:72], v[105:106], v[109:110]
	v_mul_f64 v[71:72], v[71:72], v[107:108]
	v_fma_f64 v[143:144], v[69:70], v[105:106], -v[71:72]
	ds_read_b128 v[69:72], v0 offset:19040
	ds_read_b128 v[105:108], v0 offset:20944
	s_waitcnt vmcnt(0) lgkmcnt(1)
	v_mul_f64 v[109:110], v[69:70], v[99:100]
	v_fma_f64 v[133:134], v[71:72], v[97:98], v[109:110]
	v_mul_f64 v[71:72], v[71:72], v[99:100]
	v_fma_f64 v[135:136], v[69:70], v[97:98], -v[71:72]
	s_clause 0x1
	global_load_dwordx4 v[69:72], v25, s[16:17] offset:80
	global_load_dwordx4 v[97:100], v25, s[16:17] offset:64
	s_waitcnt vmcnt(1)
	v_mul_f64 v[109:110], v[101:102], v[71:72]
	v_mul_f64 v[71:72], v[103:104], v[71:72]
	v_fma_f64 v[149:150], v[103:104], v[69:70], v[109:110]
	v_fma_f64 v[151:152], v[101:102], v[69:70], -v[71:72]
	s_clause 0x1
	global_load_dwordx4 v[69:72], v25, s[16:17] offset:160
	global_load_dwordx4 v[101:104], v25, s[16:17] offset:176
	s_waitcnt vmcnt(1) lgkmcnt(0)
	v_mul_f64 v[109:110], v[105:106], v[71:72]
	v_mul_f64 v[71:72], v[107:108], v[71:72]
	v_fma_f64 v[139:140], v[107:108], v[69:70], v[109:110]
	v_fma_f64 v[145:146], v[105:106], v[69:70], -v[71:72]
	ds_read_b128 v[69:72], v0 offset:9520
	ds_read_b128 v[105:108], v0 offset:7616
	s_waitcnt lgkmcnt(1)
	v_mul_f64 v[109:110], v[69:70], v[99:100]
	v_fma_f64 v[153:154], v[71:72], v[97:98], v[109:110]
	v_mul_f64 v[71:72], v[71:72], v[99:100]
	v_fma_f64 v[155:156], v[69:70], v[97:98], -v[71:72]
	ds_read_b128 v[69:72], v0 offset:22848
	ds_read_b128 v[97:100], v0 offset:24752
	s_waitcnt vmcnt(0) lgkmcnt(1)
	v_mul_f64 v[109:110], v[69:70], v[103:104]
	v_fma_f64 v[30:31], v[71:72], v[101:102], v[109:110]
	v_mul_f64 v[71:72], v[71:72], v[103:104]
	v_fma_f64 v[147:148], v[69:70], v[101:102], -v[71:72]
	s_clause 0x1
	global_load_dwordx4 v[69:72], v25, s[16:17] offset:48
	global_load_dwordx4 v[101:104], v25, s[16:17] offset:32
	s_waitcnt vmcnt(1)
	v_mul_f64 v[109:110], v[105:106], v[71:72]
	v_mul_f64 v[71:72], v[107:108], v[71:72]
	v_fma_f64 v[157:158], v[107:108], v[69:70], v[109:110]
	v_fma_f64 v[159:160], v[105:106], v[69:70], -v[71:72]
	global_load_dwordx4 v[105:108], v25, s[16:17]
	ds_read_b128 v[109:112], v0 offset:1904
	ds_read_b128 v[69:72], v0
	global_load_dwordx4 v[113:116], v25, s[16:17] offset:16
	s_waitcnt vmcnt(1) lgkmcnt(1)
	v_mul_f64 v[117:118], v[109:110], v[107:108]
	v_mul_f64 v[107:108], v[111:112], v[107:108]
	v_fma_f64 v[167:168], v[111:112], v[105:106], v[117:118]
	v_fma_f64 v[237:238], v[109:110], v[105:106], -v[107:108]
	s_clause 0x1
	global_load_dwordx4 v[105:108], v25, s[16:17] offset:240
	global_load_dwordx4 v[109:112], v25, s[16:17] offset:224
	ds_read_b128 v[117:120], v0 offset:30464
	s_waitcnt vmcnt(1) lgkmcnt(0)
	v_mul_f64 v[121:122], v[117:118], v[107:108]
	v_mul_f64 v[107:108], v[119:120], v[107:108]
	v_fma_f64 v[26:27], v[119:120], v[105:106], v[121:122]
	v_fma_f64 v[28:29], v[117:118], v[105:106], -v[107:108]
	ds_read_b128 v[105:108], v0 offset:3808
	ds_read_b128 v[117:120], v0 offset:5712
	s_waitcnt lgkmcnt(1)
	v_mul_f64 v[121:122], v[105:106], v[115:116]
	v_fma_f64 v[43:44], v[107:108], v[113:114], v[121:122]
	v_mul_f64 v[107:108], v[107:108], v[115:116]
	v_fma_f64 v[161:162], v[105:106], v[113:114], -v[107:108]
	ds_read_b128 v[105:108], v0 offset:28560
	ds_read_b128 v[113:116], v0 offset:26656
	s_waitcnt vmcnt(0) lgkmcnt(1)
	v_mul_f64 v[121:122], v[105:106], v[111:112]
	v_fma_f64 v[39:40], v[107:108], v[109:110], v[121:122]
	v_mul_f64 v[107:108], v[107:108], v[111:112]
	v_fma_f64 v[41:42], v[105:106], v[109:110], -v[107:108]
	s_clause 0x1
	global_load_dwordx4 v[105:108], v25, s[16:17] offset:192
	global_load_dwordx4 v[109:112], v25, s[16:17] offset:208
	buffer_store_dword v26, off, s[64:67], 0 offset:248 ; 4-byte Folded Spill
	buffer_store_dword v27, off, s[64:67], 0 offset:252 ; 4-byte Folded Spill
	;; [unrolled: 1-line block ×6, first 2 shown]
	s_waitcnt vmcnt(1)
	v_mul_f64 v[121:122], v[97:98], v[107:108]
	v_fma_f64 v[121:122], v[99:100], v[105:106], v[121:122]
	v_mul_f64 v[99:100], v[99:100], v[107:108]
	v_fma_f64 v[105:106], v[97:98], v[105:106], -v[99:100]
	v_mul_f64 v[97:98], v[117:118], v[103:104]
	v_fma_f64 v[163:164], v[119:120], v[101:102], v[97:98]
	v_mul_f64 v[97:98], v[119:120], v[103:104]
	v_fma_f64 v[165:166], v[117:118], v[101:102], -v[97:98]
	s_waitcnt vmcnt(0) lgkmcnt(0)
	v_mul_f64 v[97:98], v[113:114], v[111:112]
	v_fma_f64 v[103:104], v[115:116], v[109:110], v[97:98]
	v_mul_f64 v[97:98], v[115:116], v[111:112]
	v_fma_f64 v[107:108], v[113:114], v[109:110], -v[97:98]
	v_mul_f64 v[97:98], v[85:86], v[3:4]
	v_mul_f64 v[3:4], v[83:84], v[3:4]
	v_fma_f64 v[97:98], v[1:2], v[83:84], -v[97:98]
	v_fma_f64 v[0:1], v[1:2], v[85:86], v[3:4]
	v_mul_f64 v[2:3], v[79:80], v[7:8]
	v_mul_f64 v[7:8], v[77:78], v[7:8]
	v_fma_f64 v[83:84], v[5:6], v[77:78], -v[2:3]
	v_fma_f64 v[79:80], v[5:6], v[79:80], v[7:8]
	v_mul_f64 v[4:5], v[75:76], v[11:12]
	v_fma_f64 v[115:116], v[9:10], v[73:74], -v[4:5]
	v_mul_f64 v[4:5], v[73:74], v[11:12]
	v_fma_f64 v[117:118], v[9:10], v[75:76], v[4:5]
	v_mul_f64 v[4:5], v[87:88], v[15:16]
	v_mul_f64 v[8:9], v[35:36], v[19:20]
	v_add_f64 v[10:11], v[237:238], -v[28:29]
	v_fma_f64 v[119:120], v[13:14], v[81:82], -v[4:5]
	v_mul_f64 v[4:5], v[81:82], v[15:16]
	v_fma_f64 v[99:100], v[17:18], v[37:38], v[8:9]
	v_fma_f64 v[189:190], v[13:14], v[87:88], v[4:5]
	v_mul_f64 v[4:5], v[33:34], v[23:24]
	v_fma_f64 v[191:192], v[21:22], v[123:124], -v[4:5]
	v_mul_f64 v[4:5], v[123:124], v[23:24]
	v_fma_f64 v[141:142], v[21:22], v[33:34], v[4:5]
	v_mul_f64 v[4:5], v[37:38], v[19:20]
	v_fma_f64 v[101:102], v[17:18], v[35:36], -v[4:5]
	v_add_f64 v[36:37], v[167:168], v[26:27]
	v_mov_b32_e32 v4, v43
	v_mov_b32_e32 v5, v44
	v_mul_f64 v[2:3], v[36:37], s[10:11]
	buffer_store_dword v2, off, s[64:67], 0 offset:736 ; 4-byte Folded Spill
	buffer_store_dword v3, off, s[64:67], 0 offset:740 ; 4-byte Folded Spill
	;; [unrolled: 1-line block ×6, first 2 shown]
	v_fma_f64 v[8:9], v[10:11], s[6:7], v[2:3]
	v_mov_b32_e32 v2, v41
	v_mov_b32_e32 v3, v42
	buffer_store_dword v2, off, s[64:67], 0 offset:272 ; 4-byte Folded Spill
	buffer_store_dword v3, off, s[64:67], 0 offset:276 ; 4-byte Folded Spill
	;; [unrolled: 1-line block ×4, first 2 shown]
	v_add_f64 v[34:35], v[4:5], v[39:40]
	v_add_f64 v[42:43], v[167:168], -v[26:27]
	v_add_f64 v[40:41], v[4:5], -v[39:40]
	v_add_f64 v[8:9], v[71:72], v[8:9]
	v_mul_f64 v[12:13], v[34:35], s[42:43]
	buffer_store_dword v12, off, s[64:67], 0 offset:296 ; 4-byte Folded Spill
	buffer_store_dword v13, off, s[64:67], 0 offset:300 ; 4-byte Folded Spill
	v_mul_f64 v[6:7], v[42:43], s[50:51]
	buffer_store_dword v6, off, s[64:67], 0 offset:744 ; 4-byte Folded Spill
	buffer_store_dword v7, off, s[64:67], 0 offset:748 ; 4-byte Folded Spill
	v_add_f64 v[73:74], v[161:162], -v[2:3]
	v_add_f64 v[85:86], v[161:162], v[2:3]
	v_mul_f64 v[2:3], v[40:41], s[44:45]
	buffer_store_dword v2, off, s[64:67], 0 offset:320 ; 4-byte Folded Spill
	buffer_store_dword v3, off, s[64:67], 0 offset:324 ; 4-byte Folded Spill
	;; [unrolled: 1-line block ×10, first 2 shown]
	v_fma_f64 v[14:15], v[73:74], s[52:53], v[12:13]
	v_add_f64 v[8:9], v[14:15], v[8:9]
	v_add_f64 v[14:15], v[237:238], v[28:29]
	v_fma_f64 v[16:17], v[14:15], s[10:11], v[6:7]
	v_add_f64 v[16:17], v[69:70], v[16:17]
	v_fma_f64 v[23:24], v[85:86], s[42:43], v[2:3]
	v_add_f64 v[28:29], v[163:164], v[103:104]
	v_add_f64 v[38:39], v[163:164], -v[103:104]
	v_add_f64 v[77:78], v[165:166], -v[107:108]
	v_add_f64 v[197:198], v[165:166], v[107:108]
	v_mul_f64 v[163:164], v[40:41], s[12:13]
	v_add_f64 v[16:17], v[23:24], v[16:17]
	v_mul_f64 v[4:5], v[28:29], s[26:27]
	v_mul_f64 v[2:3], v[38:39], s[40:41]
	buffer_store_dword v4, off, s[64:67], 0 offset:304 ; 4-byte Folded Spill
	buffer_store_dword v5, off, s[64:67], 0 offset:308 ; 4-byte Folded Spill
	;; [unrolled: 1-line block ×12, first 2 shown]
	v_fma_f64 v[251:252], v[85:86], s[14:15], v[163:164]
	v_mul_f64 v[161:162], v[38:39], s[46:47]
	v_mul_f64 v[113:114], v[28:29], s[10:11]
	v_fma_f64 v[249:250], v[197:198], s[28:29], v[161:162]
	v_fma_f64 v[22:23], v[77:78], s[34:35], v[4:5]
	v_add_f64 v[24:25], v[157:158], v[121:122]
	v_add_f64 v[32:33], v[157:158], -v[121:122]
	v_add_f64 v[81:82], v[159:160], -v[105:106]
	v_add_f64 v[203:204], v[159:160], v[105:106]
	v_mul_f64 v[157:158], v[42:43], s[40:41]
	v_mul_f64 v[159:160], v[34:35], s[14:15]
	;; [unrolled: 1-line block ×3, first 2 shown]
	v_add_f64 v[8:9], v[22:23], v[8:9]
	v_fma_f64 v[22:23], v[197:198], s[26:27], v[2:3]
	v_mul_f64 v[18:19], v[24:25], s[36:37]
	v_mul_f64 v[2:3], v[32:33], s[38:39]
	buffer_store_dword v18, off, s[64:67], 0 offset:312 ; 4-byte Folded Spill
	buffer_store_dword v19, off, s[64:67], 0 offset:316 ; 4-byte Folded Spill
	;; [unrolled: 1-line block ×8, first 2 shown]
	v_add_f64 v[16:17], v[22:23], v[16:17]
	buffer_store_dword v147, off, s[64:67], 0 offset:432 ; 4-byte Folded Spill
	buffer_store_dword v148, off, s[64:67], 0 offset:436 ; 4-byte Folded Spill
	;; [unrolled: 1-line block ×4, first 2 shown]
	v_mul_f64 v[111:112], v[24:25], s[18:19]
	v_fma_f64 v[22:23], v[81:82], s[58:59], v[18:19]
	v_add_f64 v[18:19], v[153:154], v[30:31]
	v_add_f64 v[30:31], v[153:154], -v[30:31]
	v_add_f64 v[87:88], v[155:156], -v[147:148]
	v_add_f64 v[211:212], v[155:156], v[147:148]
	v_mul_f64 v[155:156], v[36:37], s[42:43]
	v_mul_f64 v[153:154], v[40:41], s[48:49]
	;; [unrolled: 1-line block ×3, first 2 shown]
	v_add_f64 v[8:9], v[22:23], v[8:9]
	v_fma_f64 v[22:23], v[203:204], s[36:37], v[2:3]
	v_mul_f64 v[20:21], v[18:19], s[28:29]
	buffer_store_dword v20, off, s[64:67], 0 offset:328 ; 4-byte Folded Spill
	buffer_store_dword v21, off, s[64:67], 0 offset:332 ; 4-byte Folded Spill
	v_mul_f64 v[2:3], v[30:31], s[30:31]
	buffer_store_dword v2, off, s[64:67], 0 offset:392 ; 4-byte Folded Spill
	buffer_store_dword v3, off, s[64:67], 0 offset:396 ; 4-byte Folded Spill
	;; [unrolled: 1-line block ×6, first 2 shown]
	v_add_f64 v[16:17], v[22:23], v[16:17]
	buffer_store_dword v145, off, s[64:67], 0 offset:472 ; 4-byte Folded Spill
	buffer_store_dword v146, off, s[64:67], 0 offset:476 ; 4-byte Folded Spill
	;; [unrolled: 1-line block ×4, first 2 shown]
	v_mul_f64 v[109:110], v[18:19], s[36:37]
	v_fma_f64 v[22:23], v[87:88], s[46:47], v[20:21]
	v_add_f64 v[8:9], v[22:23], v[8:9]
	v_fma_f64 v[22:23], v[211:212], s[28:29], v[2:3]
	v_add_f64 v[4:5], v[149:150], v[139:140]
	v_add_f64 v[26:27], v[149:150], -v[139:140]
	v_add_f64 v[193:194], v[151:152], -v[145:146]
	v_add_f64 v[219:220], v[151:152], v[145:146]
	v_mul_f64 v[139:140], v[36:37], s[26:27]
	v_mul_f64 v[151:152], v[42:43], s[38:39]
	;; [unrolled: 1-line block ×4, first 2 shown]
	v_add_f64 v[16:17], v[22:23], v[16:17]
	v_mul_f64 v[22:23], v[4:5], s[22:23]
	buffer_store_dword v22, off, s[64:67], 0 offset:336 ; 4-byte Folded Spill
	buffer_store_dword v23, off, s[64:67], 0 offset:340 ; 4-byte Folded Spill
	v_mul_f64 v[2:3], v[26:27], s[24:25]
	buffer_store_dword v2, off, s[64:67], 0 offset:408 ; 4-byte Folded Spill
	buffer_store_dword v3, off, s[64:67], 0 offset:412 ; 4-byte Folded Spill
	;; [unrolled: 1-line block ×10, first 2 shown]
	v_mul_f64 v[107:108], v[4:5], s[42:43]
	v_fma_f64 v[22:23], v[193:194], s[56:57], v[22:23]
	v_add_f64 v[8:9], v[22:23], v[8:9]
	v_fma_f64 v[22:23], v[219:220], s[22:23], v[2:3]
	v_add_f64 v[2:3], v[137:138], v[133:134]
	v_add_f64 v[201:202], v[143:144], -v[135:136]
	v_add_f64 v[225:226], v[143:144], v[135:136]
	v_mul_f64 v[143:144], v[28:29], s[42:43]
	v_mul_f64 v[135:136], v[24:25], s[26:27]
	v_add_f64 v[16:17], v[22:23], v[16:17]
	v_mul_f64 v[20:21], v[2:3], s[18:19]
	buffer_store_dword v20, off, s[64:67], 0 offset:368 ; 4-byte Folded Spill
	buffer_store_dword v21, off, s[64:67], 0 offset:372 ; 4-byte Folded Spill
	v_mul_f64 v[123:124], v[2:3], s[10:11]
	v_fma_f64 v[22:23], v[201:202], s[48:49], v[20:21]
	v_add_f64 v[20:21], v[137:138], -v[133:134]
	v_mul_f64 v[137:138], v[26:27], s[58:59]
	v_add_f64 v[8:9], v[22:23], v[8:9]
	v_mul_f64 v[6:7], v[20:21], s[20:21]
	buffer_store_dword v6, off, s[64:67], 0 offset:416 ; 4-byte Folded Spill
	buffer_store_dword v7, off, s[64:67], 0 offset:420 ; 4-byte Folded Spill
	;; [unrolled: 1-line block ×10, first 2 shown]
	v_mul_f64 v[133:134], v[20:21], s[50:51]
	v_mul_f64 v[75:76], v[20:21], s[12:13]
	v_fma_f64 v[22:23], v[225:226], s[18:19], v[6:7]
	v_add_f64 v[12:13], v[125:126], -v[127:128]
	v_add_f64 v[217:218], v[129:130], v[131:132]
	v_add_f64 v[209:210], v[129:130], -v[131:132]
	v_mul_f64 v[129:130], v[18:19], s[14:15]
	v_add_f64 v[16:17], v[22:23], v[16:17]
	v_mul_f64 v[6:7], v[12:13], s[12:13]
	buffer_store_dword v6, off, s[64:67], 0 offset:400 ; 4-byte Folded Spill
	buffer_store_dword v7, off, s[64:67], 0 offset:404 ; 4-byte Folded Spill
	v_mul_f64 v[131:132], v[12:13], s[24:25]
	v_fma_f64 v[22:23], v[217:218], s[14:15], v[6:7]
	v_add_f64 v[6:7], v[125:126], v[127:128]
	v_mul_f64 v[125:126], v[4:5], s[36:37]
	v_add_f64 v[16:17], v[22:23], v[16:17]
	v_mul_f64 v[22:23], v[6:7], s[14:15]
	buffer_store_dword v22, off, s[64:67], 0 offset:384 ; 4-byte Folded Spill
	buffer_store_dword v23, off, s[64:67], 0 offset:388 ; 4-byte Folded Spill
	v_mul_f64 v[127:128], v[6:7], s[22:23]
	v_fma_f64 v[22:23], v[209:210], s[54:55], v[22:23]
	v_add_f64 v[8:9], v[22:23], v[8:9]
	v_mul_f64 v[22:23], v[16:17], v[0:1]
	v_mul_f64 v[0:1], v[8:9], v[0:1]
	v_fma_f64 v[105:106], v[8:9], v[97:98], v[22:23]
	v_fma_f64 v[8:9], v[10:11], s[52:53], v[155:156]
	v_mul_f64 v[22:23], v[12:13], s[34:35]
	v_fma_f64 v[103:104], v[16:17], v[97:98], -v[0:1]
	v_mul_f64 v[0:1], v[34:35], s[36:37]
	buffer_store_dword v103, off, s[64:67], 0 offset:8 ; 4-byte Folded Spill
	buffer_store_dword v104, off, s[64:67], 0 offset:12 ; 4-byte Folded Spill
	;; [unrolled: 1-line block ×6, first 2 shown]
	v_add_f64 v[8:9], v[71:72], v[8:9]
	v_fma_f64 v[16:17], v[73:74], s[58:59], v[0:1]
	v_mul_f64 v[0:1], v[42:43], s[44:45]
	buffer_store_dword v0, off, s[64:67], 0 offset:864 ; 4-byte Folded Spill
	buffer_store_dword v1, off, s[64:67], 0 offset:868 ; 4-byte Folded Spill
	v_add_f64 v[8:9], v[16:17], v[8:9]
	v_fma_f64 v[16:17], v[14:15], s[42:43], v[0:1]
	v_mul_f64 v[0:1], v[40:41], s[38:39]
	buffer_store_dword v0, off, s[64:67], 0 offset:648 ; 4-byte Folded Spill
	buffer_store_dword v1, off, s[64:67], 0 offset:652 ; 4-byte Folded Spill
	;; [unrolled: 5-line block ×14, first 2 shown]
	v_add_f64 v[16:17], v[97:98], v[16:17]
	v_fma_f64 v[97:98], v[209:210], s[50:51], v[0:1]
	v_mul_f64 v[0:1], v[34:35], s[22:23]
	v_add_f64 v[8:9], v[97:98], v[8:9]
	v_mul_f64 v[97:98], v[16:17], v[79:80]
	v_mul_f64 v[79:80], v[8:9], v[79:80]
	v_fma_f64 v[105:106], v[8:9], v[83:84], v[97:98]
	v_fma_f64 v[8:9], v[10:11], s[34:35], v[139:140]
	v_fma_f64 v[103:104], v[16:17], v[83:84], -v[79:80]
	buffer_store_dword v103, off, s[64:67], 0 offset:24 ; 4-byte Folded Spill
	buffer_store_dword v104, off, s[64:67], 0 offset:28 ; 4-byte Folded Spill
	;; [unrolled: 1-line block ×6, first 2 shown]
	v_fma_f64 v[79:80], v[14:15], s[26:27], v[157:158]
	v_add_f64 v[8:9], v[71:72], v[8:9]
	v_add_f64 v[79:80], v[69:70], v[79:80]
	v_fma_f64 v[16:17], v[73:74], s[56:57], v[0:1]
	v_mul_f64 v[0:1], v[40:41], s[24:25]
	buffer_store_dword v0, off, s[64:67], 0 offset:752 ; 4-byte Folded Spill
	buffer_store_dword v1, off, s[64:67], 0 offset:756 ; 4-byte Folded Spill
	v_add_f64 v[8:9], v[16:17], v[8:9]
	v_mul_f64 v[16:17], v[6:7], s[26:27]
	v_fma_f64 v[83:84], v[85:86], s[22:23], v[0:1]
	v_mul_f64 v[0:1], v[28:29], s[14:15]
	buffer_store_dword v0, off, s[64:67], 0 offset:792 ; 4-byte Folded Spill
	buffer_store_dword v1, off, s[64:67], 0 offset:796 ; 4-byte Folded Spill
	v_add_f64 v[79:80], v[83:84], v[79:80]
	v_fma_f64 v[83:84], v[77:78], s[12:13], v[0:1]
	v_mul_f64 v[0:1], v[38:39], s[54:55]
	buffer_store_dword v0, off, s[64:67], 0 offset:760 ; 4-byte Folded Spill
	buffer_store_dword v1, off, s[64:67], 0 offset:764 ; 4-byte Folded Spill
	v_add_f64 v[8:9], v[83:84], v[8:9]
	;; [unrolled: 5-line block ×9, first 2 shown]
	v_mul_f64 v[83:84], v[30:31], s[58:59]
	v_fma_f64 v[97:98], v[201:202], s[58:59], v[0:1]
	v_mul_f64 v[0:1], v[20:21], s[38:39]
	buffer_store_dword v0, off, s[64:67], 0 offset:816 ; 4-byte Folded Spill
	buffer_store_dword v1, off, s[64:67], 0 offset:820 ; 4-byte Folded Spill
	v_add_f64 v[8:9], v[97:98], v[8:9]
	v_fma_f64 v[97:98], v[225:226], s[36:37], v[0:1]
	v_mul_f64 v[0:1], v[12:13], s[20:21]
	buffer_store_dword v0, off, s[64:67], 0 offset:832 ; 4-byte Folded Spill
	buffer_store_dword v1, off, s[64:67], 0 offset:836 ; 4-byte Folded Spill
	v_add_f64 v[79:80], v[97:98], v[79:80]
	;; [unrolled: 5-line block ×3, first 2 shown]
	v_mul_f64 v[97:98], v[32:33], s[20:21]
	v_fma_f64 v[247:248], v[209:210], s[48:49], v[0:1]
	v_mul_f64 v[0:1], v[40:41], s[34:35]
	v_add_f64 v[8:9], v[247:248], v[8:9]
	v_mul_f64 v[247:248], v[79:80], v[117:118]
	v_fma_f64 v[177:178], v[85:86], s[26:27], v[0:1]
	v_fma_f64 v[0:1], v[85:86], s[26:27], -v[0:1]
	v_mul_f64 v[117:118], v[8:9], v[117:118]
	v_fma_f64 v[105:106], v[8:9], v[115:116], v[247:248]
	v_mul_f64 v[247:248], v[36:37], s[36:37]
	v_fma_f64 v[103:104], v[79:80], v[115:116], -v[117:118]
	v_fma_f64 v[115:116], v[73:74], s[54:55], v[159:160]
	v_fma_f64 v[8:9], v[10:11], s[58:59], v[247:248]
	buffer_store_dword v103, off, s[64:67], 0 offset:40 ; 4-byte Folded Spill
	buffer_store_dword v104, off, s[64:67], 0 offset:44 ; 4-byte Folded Spill
	;; [unrolled: 1-line block ×4, first 2 shown]
	v_add_f64 v[79:80], v[71:72], v[8:9]
	v_mul_f64 v[8:9], v[42:43], s[24:25]
	v_add_f64 v[79:80], v[115:116], v[79:80]
	v_fma_f64 v[115:116], v[14:15], s[36:37], v[151:152]
	v_add_f64 v[117:118], v[69:70], v[115:116]
	v_mul_f64 v[115:116], v[34:35], s[28:29]
	v_add_f64 v[117:118], v[251:252], v[117:118]
	v_mul_f64 v[251:252], v[28:29], s[28:29]
	v_add_f64 v[117:118], v[249:250], v[117:118]
	v_fma_f64 v[253:254], v[77:78], s[30:31], v[251:252]
	v_mul_f64 v[249:250], v[24:25], s[10:11]
	v_add_f64 v[253:254], v[253:254], v[79:80]
	v_fma_f64 v[245:246], v[81:82], s[50:51], v[249:250]
	v_mul_f64 v[79:80], v[26:27], s[44:45]
	v_add_f64 v[245:246], v[245:246], v[253:254]
	v_mul_f64 v[253:254], v[32:33], s[6:7]
	v_fma_f64 v[243:244], v[203:204], s[10:11], v[253:254]
	v_add_f64 v[117:118], v[243:244], v[117:118]
	v_mul_f64 v[243:244], v[18:19], s[26:27]
	v_fma_f64 v[235:236], v[87:88], s[34:35], v[243:244]
	;; [unrolled: 3-line block ×9, first 2 shown]
	v_add_f64 v[195:196], v[195:196], v[205:206]
	v_mul_f64 v[205:206], v[117:118], v[189:190]
	v_mul_f64 v[189:190], v[195:196], v[189:190]
	v_fma_f64 v[105:106], v[195:196], v[119:120], v[205:206]
	v_mul_f64 v[195:196], v[36:37], s[28:29]
	v_mul_f64 v[205:206], v[34:35], s[18:19]
	v_fma_f64 v[103:104], v[117:118], v[119:120], -v[189:190]
	v_fma_f64 v[189:190], v[85:86], s[18:19], v[153:154]
	v_fma_f64 v[117:118], v[10:11], s[46:47], v[195:196]
	;; [unrolled: 1-line block ×3, first 2 shown]
	buffer_store_dword v103, off, s[64:67], 0 offset:56 ; 4-byte Folded Spill
	buffer_store_dword v104, off, s[64:67], 0 offset:60 ; 4-byte Folded Spill
	;; [unrolled: 1-line block ×4, first 2 shown]
	v_add_f64 v[117:118], v[71:72], v[117:118]
	v_add_f64 v[117:118], v[119:120], v[117:118]
	v_fma_f64 v[119:120], v[14:15], s[28:29], v[121:122]
	v_add_f64 v[119:120], v[69:70], v[119:120]
	v_add_f64 v[119:120], v[189:190], v[119:120]
	v_fma_f64 v[189:190], v[77:78], s[44:45], v[143:144]
	v_add_f64 v[117:118], v[189:190], v[117:118]
	v_fma_f64 v[189:190], v[197:198], s[42:43], v[149:150]
	;; [unrolled: 2-line block ×12, first 2 shown]
	v_add_f64 v[117:118], v[119:120], v[117:118]
	v_mul_f64 v[119:120], v[189:190], v[141:142]
	v_mul_f64 v[141:142], v[117:118], v[141:142]
	v_fma_f64 v[105:106], v[117:118], v[191:192], v[119:120]
	v_mul_f64 v[119:120], v[38:39], s[50:51]
	v_fma_f64 v[103:104], v[189:190], v[191:192], -v[141:142]
	v_mul_f64 v[141:142], v[36:37], s[22:23]
	v_fma_f64 v[191:192], v[73:74], s[30:31], v[115:116]
	buffer_store_dword v103, off, s[64:67], 0 offset:80 ; 4-byte Folded Spill
	buffer_store_dword v104, off, s[64:67], 0 offset:84 ; 4-byte Folded Spill
	;; [unrolled: 1-line block ×4, first 2 shown]
	v_fma_f64 v[189:190], v[10:11], s[56:57], v[141:142]
	v_mul_f64 v[105:106], v[2:3], s[14:15]
	v_mul_f64 v[103:104], v[40:41], s[46:47]
	;; [unrolled: 1-line block ×3, first 2 shown]
	v_add_f64 v[189:190], v[71:72], v[189:190]
	v_fma_f64 v[117:118], v[85:86], s[28:29], v[103:104]
	v_add_f64 v[189:190], v[191:192], v[189:190]
	v_fma_f64 v[191:192], v[77:78], s[6:7], v[113:114]
	;; [unrolled: 2-line block ×7, first 2 shown]
	v_fma_f64 v[8:9], v[14:15], s[22:23], -v[8:9]
	v_add_f64 v[191:192], v[69:70], v[191:192]
	v_add_f64 v[8:9], v[69:70], v[8:9]
	;; [unrolled: 1-line block ×3, first 2 shown]
	v_fma_f64 v[191:192], v[197:198], s[10:11], v[119:120]
	v_add_f64 v[117:118], v[191:192], v[117:118]
	v_fma_f64 v[191:192], v[203:204], s[18:19], v[97:98]
	v_add_f64 v[117:118], v[191:192], v[117:118]
	;; [unrolled: 2-line block ×5, first 2 shown]
	v_fma_f64 v[191:192], v[217:218], s[26:27], v[22:23]
	v_fma_f64 v[22:23], v[217:218], s[26:27], -v[22:23]
	v_add_f64 v[117:118], v[191:192], v[117:118]
	v_fma_f64 v[191:192], v[209:210], s[40:41], v[16:17]
	v_fma_f64 v[16:17], v[209:210], s[34:35], v[16:17]
	v_add_f64 v[189:190], v[191:192], v[189:190]
	v_mul_f64 v[191:192], v[117:118], v[99:100]
	v_mul_f64 v[99:100], v[189:190], v[99:100]
	v_fma_f64 v[167:168], v[189:190], v[101:102], v[191:192]
	v_fma_f64 v[165:166], v[117:118], v[101:102], -v[99:100]
	v_mul_f64 v[99:100], v[171:172], v[63:64]
	v_mul_f64 v[63:64], v[169:170], v[63:64]
	;; [unrolled: 1-line block ×4, first 2 shown]
	buffer_store_dword v165, off, s[64:67], 0 offset:168 ; 4-byte Folded Spill
	buffer_store_dword v166, off, s[64:67], 0 offset:172 ; 4-byte Folded Spill
	;; [unrolled: 1-line block ×4, first 2 shown]
	v_fma_f64 v[99:100], v[61:62], v[169:170], -v[99:100]
	v_fma_f64 v[61:62], v[61:62], v[171:172], v[63:64]
	v_fma_f64 v[63:64], v[10:11], s[48:49], v[101:102]
	v_fma_f64 v[189:190], v[73:74], s[40:41], v[117:118]
	v_mul_f64 v[36:37], v[36:37], s[14:15]
	v_mul_f64 v[34:35], v[34:35], s[10:11]
	v_add_f64 v[63:64], v[71:72], v[63:64]
	v_add_f64 v[63:64], v[189:190], v[63:64]
	v_mul_f64 v[189:190], v[28:29], s[36:37]
	v_mul_f64 v[28:29], v[28:29], s[18:19]
	v_fma_f64 v[191:192], v[77:78], s[58:59], v[189:190]
	v_add_f64 v[63:64], v[191:192], v[63:64]
	v_mul_f64 v[191:192], v[24:25], s[22:23]
	v_mul_f64 v[24:25], v[24:25], s[42:43]
	v_fma_f64 v[185:186], v[81:82], s[24:25], v[191:192]
	;; [unrolled: 4-line block ×6, first 2 shown]
	v_add_f64 v[179:180], v[69:70], v[179:180]
	v_add_f64 v[177:178], v[177:178], v[179:180]
	v_mul_f64 v[179:180], v[38:39], s[38:39]
	v_mul_f64 v[38:39], v[38:39], s[20:21]
	v_fma_f64 v[173:174], v[197:198], s[36:37], v[179:180]
	v_add_f64 v[173:174], v[173:174], v[177:178]
	v_mul_f64 v[177:178], v[32:33], s[56:57]
	v_mul_f64 v[32:33], v[32:33], s[52:53]
	v_fma_f64 v[175:176], v[203:204], s[22:23], v[177:178]
	;; [unrolled: 4-line block ×8, first 2 shown]
	s_clause 0x1
	buffer_load_dword v233, off, s[64:67], 0 offset:208
	buffer_load_dword v234, off, s[64:67], 0 offset:212
	v_fma_f64 v[61:62], v[165:166], v[99:100], -v[61:62]
	s_clause 0x1
	buffer_load_dword v165, off, s[64:67], 0 offset:200
	buffer_load_dword v166, off, s[64:67], 0 offset:204
	s_waitcnt vmcnt(2)
	v_mul_f64 v[99:100], v[233:234], v[55:56]
	s_waitcnt vmcnt(0)
	v_mul_f64 v[55:56], v[165:166], v[55:56]
	v_fma_f64 v[99:100], v[53:54], v[165:166], -v[99:100]
	v_fma_f64 v[165:166], v[73:74], s[50:51], v[34:35]
	v_fma_f64 v[34:35], v[73:74], s[6:7], v[34:35]
	;; [unrolled: 1-line block ×6, first 2 shown]
	v_add_f64 v[55:56], v[71:72], v[55:56]
	v_add_f64 v[36:37], v[71:72], v[36:37]
	;; [unrolled: 1-line block ×3, first 2 shown]
	v_fma_f64 v[165:166], v[77:78], s[48:49], v[28:29]
	v_add_f64 v[34:35], v[34:35], v[36:37]
	v_fma_f64 v[28:29], v[77:78], s[20:21], v[28:29]
	v_add_f64 v[55:56], v[165:166], v[55:56]
	;; [unrolled: 2-line block ×9, first 2 shown]
	v_fma_f64 v[2:3], v[201:202], s[30:31], v[2:3]
	v_fma_f64 v[18:19], v[85:86], s[10:11], -v[40:41]
	v_add_f64 v[55:56], v[165:166], v[55:56]
	v_fma_f64 v[165:166], v[14:15], s[14:15], v[42:43]
	v_add_f64 v[2:3], v[2:3], v[4:5]
	v_fma_f64 v[4:5], v[14:15], s[14:15], -v[42:43]
	v_fma_f64 v[43:44], v[10:11], s[38:39], v[247:248]
	v_add_f64 v[165:166], v[69:70], v[165:166]
	v_add_f64 v[4:5], v[69:70], v[4:5]
	;; [unrolled: 1-line block ×4, first 2 shown]
	v_fma_f64 v[233:234], v[197:198], s[18:19], v[38:39]
	v_add_f64 v[4:5], v[18:19], v[4:5]
	v_fma_f64 v[18:19], v[197:198], s[18:19], -v[38:39]
	v_add_f64 v[165:166], v[233:234], v[165:166]
	v_fma_f64 v[233:234], v[203:204], s[42:43], v[32:33]
	v_add_f64 v[4:5], v[18:19], v[4:5]
	v_fma_f64 v[18:19], v[203:204], s[42:43], -v[32:33]
	v_add_f64 v[165:166], v[233:234], v[165:166]
	v_fma_f64 v[233:234], v[211:212], s[22:23], v[30:31]
	v_add_f64 v[4:5], v[18:19], v[4:5]
	v_fma_f64 v[18:19], v[211:212], s[22:23], -v[30:31]
	v_fma_f64 v[30:31], v[73:74], s[34:35], v[117:118]
	v_add_f64 v[165:166], v[233:234], v[165:166]
	v_fma_f64 v[233:234], v[219:220], s[26:27], v[26:27]
	v_add_f64 v[4:5], v[18:19], v[4:5]
	v_fma_f64 v[18:19], v[219:220], s[26:27], -v[26:27]
	v_add_f64 v[165:166], v[233:234], v[165:166]
	v_fma_f64 v[233:234], v[225:226], s[28:29], v[20:21]
	v_add_f64 v[4:5], v[18:19], v[4:5]
	v_fma_f64 v[18:19], v[225:226], s[28:29], -v[20:21]
	;; [unrolled: 4-line block ×3, first 2 shown]
	v_add_f64 v[165:166], v[233:234], v[165:166]
	v_fma_f64 v[233:234], v[209:210], s[38:39], v[6:7]
	v_add_f64 v[4:5], v[12:13], v[4:5]
	v_fma_f64 v[6:7], v[209:210], s[58:59], v[6:7]
	v_add_f64 v[55:56], v[233:234], v[55:56]
	v_mul_f64 v[233:234], v[165:166], v[53:54]
	v_add_f64 v[2:3], v[6:7], v[2:3]
	v_mul_f64 v[53:54], v[55:56], v[53:54]
	v_fma_f64 v[55:56], v[55:56], v[99:100], v[233:234]
	s_clause 0x1
	buffer_load_dword v233, off, s[64:67], 0 offset:160
	buffer_load_dword v234, off, s[64:67], 0 offset:164
	v_fma_f64 v[53:54], v[165:166], v[99:100], -v[53:54]
	s_clause 0x1
	buffer_load_dword v165, off, s[64:67], 0 offset:128
	buffer_load_dword v166, off, s[64:67], 0 offset:132
	s_waitcnt vmcnt(2)
	v_mul_f64 v[99:100], v[233:234], v[91:92]
	s_waitcnt vmcnt(0)
	v_mul_f64 v[91:92], v[165:166], v[91:92]
	v_fma_f64 v[99:100], v[89:90], v[165:166], -v[99:100]
	v_fma_f64 v[89:90], v[89:90], v[233:234], v[91:92]
	v_mul_f64 v[6:7], v[4:5], v[89:90]
	v_mul_f64 v[12:13], v[2:3], v[89:90]
	v_fma_f64 v[39:40], v[2:3], v[99:100], v[6:7]
	s_clause 0x1
	buffer_load_dword v6, off, s[64:67], 0 offset:104
	buffer_load_dword v7, off, s[64:67], 0 offset:108
	v_fma_f64 v[37:38], v[4:5], v[99:100], -v[12:13]
	s_clause 0xd
	buffer_load_dword v4, off, s[64:67], 0 offset:96
	buffer_load_dword v5, off, s[64:67], 0 offset:100
	;; [unrolled: 1-line block ×14, first 2 shown]
	s_waitcnt vmcnt(14)
	v_mul_f64 v[2:3], v[6:7], v[95:96]
	s_waitcnt vmcnt(12)
	v_fma_f64 v[2:3], v[93:94], v[4:5], -v[2:3]
	v_mul_f64 v[4:5], v[4:5], v[95:96]
	v_fma_f64 v[4:5], v[93:94], v[6:7], v[4:5]
	s_waitcnt vmcnt(10)
	v_mul_f64 v[6:7], v[18:19], v[47:48]
	s_waitcnt vmcnt(8)
	v_fma_f64 v[6:7], v[45:46], v[12:13], -v[6:7]
	v_mul_f64 v[12:13], v[12:13], v[47:48]
	v_fma_f64 v[47:48], v[10:11], s[44:45], v[155:156]
	v_fma_f64 v[12:13], v[45:46], v[18:19], v[12:13]
	s_waitcnt vmcnt(6)
	v_mul_f64 v[18:19], v[24:25], v[241:242]
	v_fma_f64 v[45:46], v[10:11], s[40:41], v[139:140]
	v_add_f64 v[47:48], v[71:72], v[47:48]
	s_waitcnt vmcnt(4)
	v_fma_f64 v[18:19], v[239:240], v[20:21], -v[18:19]
	v_mul_f64 v[20:21], v[20:21], v[241:242]
	v_add_f64 v[45:46], v[71:72], v[45:46]
	v_fma_f64 v[20:21], v[239:240], v[24:25], v[20:21]
	s_waitcnt vmcnt(2)
	v_mul_f64 v[24:25], v[28:29], v[59:60]
	s_waitcnt vmcnt(0)
	v_fma_f64 v[24:25], v[57:58], v[26:27], v[24:25]
	v_mul_f64 v[26:27], v[26:27], v[59:60]
	v_fma_f64 v[26:27], v[57:58], v[28:29], -v[26:27]
	v_fma_f64 v[28:29], v[10:11], s[20:21], v[101:102]
	v_fma_f64 v[57:58], v[14:15], s[26:27], -v[157:158]
	v_add_f64 v[28:29], v[71:72], v[28:29]
	v_add_f64 v[57:58], v[69:70], v[57:58]
	;; [unrolled: 1-line block ×3, first 2 shown]
	v_fma_f64 v[30:31], v[77:78], s[38:39], v[189:190]
	v_add_f64 v[28:29], v[30:31], v[28:29]
	v_fma_f64 v[30:31], v[81:82], s[56:57], v[191:192]
	v_add_f64 v[28:29], v[30:31], v[28:29]
	;; [unrolled: 2-line block ×5, first 2 shown]
	v_fma_f64 v[30:31], v[14:15], s[18:19], -v[181:182]
	v_add_f64 v[30:31], v[69:70], v[30:31]
	v_add_f64 v[0:1], v[0:1], v[30:31]
	v_fma_f64 v[30:31], v[197:198], s[36:37], -v[179:180]
	v_add_f64 v[0:1], v[30:31], v[0:1]
	v_fma_f64 v[30:31], v[203:204], s[22:23], -v[177:178]
	;; [unrolled: 2-line block ×6, first 2 shown]
	v_add_f64 v[0:1], v[30:31], v[0:1]
	v_fma_f64 v[30:31], v[209:210], s[30:31], v[167:168]
	v_add_f64 v[28:29], v[30:31], v[28:29]
	v_mul_f64 v[30:31], v[0:1], v[4:5]
	v_mul_f64 v[4:5], v[28:29], v[4:5]
	v_fma_f64 v[35:36], v[28:29], v[2:3], v[30:31]
	v_fma_f64 v[33:34], v[0:1], v[2:3], -v[4:5]
	s_clause 0x7
	buffer_load_dword v4, off, s[64:67], 0 offset:184
	buffer_load_dword v5, off, s[64:67], 0 offset:188
	;; [unrolled: 1-line block ×8, first 2 shown]
	s_waitcnt vmcnt(6)
	v_mul_f64 v[0:1], v[4:5], v[51:52]
	s_waitcnt vmcnt(4)
	v_fma_f64 v[0:1], v[49:50], v[2:3], v[0:1]
	v_mul_f64 v[2:3], v[2:3], v[51:52]
	v_fma_f64 v[51:52], v[14:15], s[36:37], -v[151:152]
	v_fma_f64 v[28:29], v[49:50], v[4:5], -v[2:3]
	s_waitcnt vmcnt(2)
	v_mul_f64 v[2:3], v[30:31], v[67:68]
	s_clause 0x3
	buffer_load_dword v49, off, s[64:67], 0 offset:736
	buffer_load_dword v50, off, s[64:67], 0 offset:740
	;; [unrolled: 1-line block ×4, first 2 shown]
	v_add_f64 v[51:52], v[69:70], v[51:52]
	s_waitcnt vmcnt(4)
	v_fma_f64 v[4:5], v[65:66], v[41:42], v[2:3]
	v_mul_f64 v[2:3], v[41:42], v[67:68]
	v_fma_f64 v[41:42], v[10:11], s[30:31], v[195:196]
	v_fma_f64 v[30:31], v[65:66], v[30:31], -v[2:3]
	s_clause 0x1
	buffer_load_dword v65, off, s[64:67], 0 offset:744
	buffer_load_dword v66, off, s[64:67], 0 offset:748
	v_fma_f64 v[2:3], v[10:11], s[24:25], v[141:142]
	v_add_f64 v[41:42], v[71:72], v[41:42]
	s_clause 0x1
	buffer_load_dword v67, off, s[64:67], 0 offset:728
	buffer_load_dword v68, off, s[64:67], 0 offset:732
	v_add_f64 v[2:3], v[71:72], v[2:3]
	s_waitcnt vmcnt(6)
	v_fma_f64 v[10:11], v[10:11], s[50:51], v[49:50]
	v_fma_f64 v[49:50], v[14:15], s[28:29], -v[121:122]
	s_waitcnt vmcnt(4)
	v_fma_f64 v[59:60], v[14:15], s[42:43], -v[59:60]
	v_add_f64 v[10:11], v[71:72], v[10:11]
	v_add_f64 v[49:50], v[69:70], v[49:50]
	;; [unrolled: 1-line block ×3, first 2 shown]
	s_waitcnt vmcnt(2)
	v_fma_f64 v[14:15], v[14:15], s[10:11], -v[65:66]
	v_add_f64 v[65:66], v[69:70], v[237:238]
	s_waitcnt vmcnt(0)
	v_add_f64 v[67:68], v[71:72], v[67:68]
	v_add_f64 v[14:15], v[69:70], v[14:15]
	v_fma_f64 v[69:70], v[73:74], s[46:47], v[115:116]
	v_add_f64 v[2:3], v[69:70], v[2:3]
	v_fma_f64 v[69:70], v[77:78], s[50:51], v[113:114]
	;; [unrolled: 2-line block ×6, first 2 shown]
	v_add_f64 v[2:3], v[69:70], v[2:3]
	v_fma_f64 v[69:70], v[85:86], s[28:29], -v[103:104]
	v_add_f64 v[2:3], v[16:17], v[2:3]
	v_add_f64 v[8:9], v[69:70], v[8:9]
	v_fma_f64 v[69:70], v[197:198], s[10:11], -v[119:120]
	v_fma_f64 v[16:17], v[73:74], s[48:49], v[205:206]
	v_add_f64 v[8:9], v[69:70], v[8:9]
	v_fma_f64 v[69:70], v[203:204], s[18:19], -v[97:98]
	v_add_f64 v[16:17], v[16:17], v[41:42]
	v_fma_f64 v[41:42], v[197:198], s[42:43], -v[149:150]
	;; [unrolled: 2-line block ×5, first 2 shown]
	v_add_f64 v[8:9], v[69:70], v[8:9]
	v_add_f64 v[8:9], v[22:23], v[8:9]
	v_fma_f64 v[22:23], v[77:78], s[52:53], v[143:144]
	v_add_f64 v[16:17], v[22:23], v[16:17]
	v_fma_f64 v[22:23], v[81:82], s[40:41], v[135:136]
	;; [unrolled: 2-line block ×5, first 2 shown]
	v_add_f64 v[16:17], v[22:23], v[16:17]
	v_fma_f64 v[22:23], v[85:86], s[18:19], -v[153:154]
	v_add_f64 v[22:23], v[22:23], v[49:50]
	v_fma_f64 v[49:50], v[197:198], s[28:29], -v[161:162]
	;; [unrolled: 2-line block ×7, first 2 shown]
	v_add_f64 v[22:23], v[41:42], v[22:23]
	v_fma_f64 v[41:42], v[209:210], s[24:25], v[127:128]
	v_mul_f64 v[75:76], v[22:23], v[20:21]
	v_add_f64 v[16:17], v[41:42], v[16:17]
	v_fma_f64 v[41:42], v[73:74], s[12:13], v[159:160]
	v_mul_f64 v[20:21], v[16:17], v[20:21]
	v_add_f64 v[41:42], v[41:42], v[43:44]
	v_fma_f64 v[43:44], v[77:78], s[46:47], v[251:252]
	v_add_f64 v[41:42], v[43:44], v[41:42]
	v_fma_f64 v[43:44], v[81:82], s[6:7], v[249:250]
	;; [unrolled: 2-line block ×5, first 2 shown]
	v_add_f64 v[41:42], v[43:44], v[41:42]
	v_fma_f64 v[43:44], v[85:86], s[14:15], -v[163:164]
	v_add_f64 v[43:44], v[43:44], v[51:52]
	v_add_f64 v[43:44], v[49:50], v[43:44]
	v_fma_f64 v[49:50], v[203:204], s[10:11], -v[253:254]
	v_add_f64 v[43:44], v[49:50], v[43:44]
	v_fma_f64 v[49:50], v[211:212], s[26:27], -v[245:246]
	;; [unrolled: 2-line block ×5, first 2 shown]
	v_add_f64 v[43:44], v[49:50], v[43:44]
	v_fma_f64 v[49:50], v[209:210], s[52:53], v[199:200]
	v_add_f64 v[41:42], v[49:50], v[41:42]
	s_clause 0x1
	buffer_load_dword v49, off, s[64:67], 0 offset:776
	buffer_load_dword v50, off, s[64:67], 0 offset:780
	s_waitcnt vmcnt(0)
	v_fma_f64 v[49:50], v[73:74], s[24:25], v[49:50]
	v_add_f64 v[45:46], v[49:50], v[45:46]
	s_clause 0x1
	buffer_load_dword v49, off, s[64:67], 0 offset:792
	buffer_load_dword v50, off, s[64:67], 0 offset:796
	s_waitcnt vmcnt(0)
	;; [unrolled: 6-line block ×6, first 2 shown]
	v_fma_f64 v[49:50], v[201:202], s[38:39], v[49:50]
	v_add_f64 v[45:46], v[49:50], v[45:46]
	s_clause 0x3
	buffer_load_dword v49, off, s[64:67], 0 offset:752
	buffer_load_dword v50, off, s[64:67], 0 offset:756
	;; [unrolled: 1-line block ×4, first 2 shown]
	s_waitcnt vmcnt(2)
	v_fma_f64 v[49:50], v[85:86], s[22:23], -v[49:50]
	s_waitcnt vmcnt(0)
	v_fma_f64 v[51:52], v[197:198], s[14:15], -v[51:52]
	v_add_f64 v[49:50], v[49:50], v[57:58]
	v_add_f64 v[49:50], v[51:52], v[49:50]
	s_clause 0x1
	buffer_load_dword v51, off, s[64:67], 0 offset:768
	buffer_load_dword v52, off, s[64:67], 0 offset:772
	s_waitcnt vmcnt(0)
	v_fma_f64 v[51:52], v[203:204], s[28:29], -v[51:52]
	v_add_f64 v[49:50], v[51:52], v[49:50]
	s_clause 0x1
	buffer_load_dword v51, off, s[64:67], 0 offset:784
	buffer_load_dword v52, off, s[64:67], 0 offset:788
	s_waitcnt vmcnt(0)
	v_fma_f64 v[51:52], v[211:212], s[42:43], -v[51:52]
	;; [unrolled: 6-line block ×5, first 2 shown]
	v_add_f64 v[49:50], v[51:52], v[49:50]
	s_clause 0x1
	buffer_load_dword v51, off, s[64:67], 0 offset:840
	buffer_load_dword v52, off, s[64:67], 0 offset:844
	s_waitcnt vmcnt(0)
	v_fma_f64 v[51:52], v[209:210], s[20:21], v[51:52]
	v_add_f64 v[45:46], v[51:52], v[45:46]
	s_clause 0x3
	buffer_load_dword v51, off, s[64:67], 0 offset:448
	buffer_load_dword v52, off, s[64:67], 0 offset:452
	;; [unrolled: 1-line block ×4, first 2 shown]
	s_waitcnt vmcnt(2)
	v_add_f64 v[51:52], v[65:66], v[51:52]
	s_clause 0x1
	buffer_load_dword v65, off, s[64:67], 0 offset:696
	buffer_load_dword v66, off, s[64:67], 0 offset:700
	s_waitcnt vmcnt(2)
	v_add_f64 v[57:58], v[67:68], v[57:58]
	s_waitcnt vmcnt(0)
	v_fma_f64 v[65:66], v[73:74], s[38:39], v[65:66]
	v_add_f64 v[47:48], v[65:66], v[47:48]
	s_clause 0x1
	buffer_load_dword v65, off, s[64:67], 0 offset:480
	buffer_load_dword v66, off, s[64:67], 0 offset:484
	s_waitcnt vmcnt(0)
	v_add_f64 v[51:52], v[51:52], v[65:66]
	s_clause 0x1
	buffer_load_dword v65, off, s[64:67], 0 offset:464
	buffer_load_dword v66, off, s[64:67], 0 offset:468
	s_waitcnt vmcnt(0)
	v_add_f64 v[57:58], v[57:58], v[65:66]
	s_clause 0x1
	buffer_load_dword v65, off, s[64:67], 0 offset:704
	buffer_load_dword v66, off, s[64:67], 0 offset:708
	s_waitcnt vmcnt(0)
	v_fma_f64 v[65:66], v[77:78], s[24:25], v[65:66]
	v_add_f64 v[47:48], v[65:66], v[47:48]
	s_clause 0x1
	buffer_load_dword v65, off, s[64:67], 0 offset:496
	buffer_load_dword v66, off, s[64:67], 0 offset:500
	s_waitcnt vmcnt(0)
	v_add_f64 v[51:52], v[51:52], v[65:66]
	s_clause 0x1
	buffer_load_dword v65, off, s[64:67], 0 offset:488
	buffer_load_dword v66, off, s[64:67], 0 offset:492
	s_waitcnt vmcnt(0)
	v_add_f64 v[57:58], v[57:58], v[65:66]
	s_clause 0x1
	buffer_load_dword v65, off, s[64:67], 0 offset:712
	buffer_load_dword v66, off, s[64:67], 0 offset:716
	;; [unrolled: 16-line block ×4, first 2 shown]
	s_waitcnt vmcnt(0)
	v_fma_f64 v[65:66], v[85:86], s[36:37], -v[65:66]
	v_add_f64 v[59:60], v[65:66], v[59:60]
	s_clause 0x1
	buffer_load_dword v65, off, s[64:67], 0 offset:568
	buffer_load_dword v66, off, s[64:67], 0 offset:572
	s_waitcnt vmcnt(0)
	v_add_f64 v[51:52], v[51:52], v[65:66]
	s_clause 0x1
	buffer_load_dword v65, off, s[64:67], 0 offset:552
	buffer_load_dword v66, off, s[64:67], 0 offset:556
	s_waitcnt vmcnt(0)
	v_add_f64 v[57:58], v[57:58], v[65:66]
	s_clause 0x1
	buffer_load_dword v65, off, s[64:67], 0 offset:664
	buffer_load_dword v66, off, s[64:67], 0 offset:668
	s_waitcnt vmcnt(0)
	v_fma_f64 v[65:66], v[197:198], s[22:23], -v[65:66]
	v_add_f64 v[59:60], v[65:66], v[59:60]
	s_clause 0x1
	buffer_load_dword v65, off, s[64:67], 0 offset:592
	buffer_load_dword v66, off, s[64:67], 0 offset:596
	s_waitcnt vmcnt(0)
	v_add_f64 v[51:52], v[51:52], v[65:66]
	s_clause 0x1
	buffer_load_dword v65, off, s[64:67], 0 offset:584
	buffer_load_dword v66, off, s[64:67], 0 offset:588
	s_waitcnt vmcnt(0)
	v_add_f64 v[57:58], v[57:58], v[65:66]
	s_clause 0x1
	buffer_load_dword v65, off, s[64:67], 0 offset:672
	buffer_load_dword v66, off, s[64:67], 0 offset:676
	;; [unrolled: 16-line block ×4, first 2 shown]
	s_waitcnt vmcnt(0)
	v_fma_f64 v[65:66], v[193:194], s[46:47], v[65:66]
	v_add_f64 v[47:48], v[65:66], v[47:48]
	s_clause 0x1
	buffer_load_dword v65, off, s[64:67], 0 offset:472
	buffer_load_dword v66, off, s[64:67], 0 offset:476
	s_waitcnt vmcnt(0)
	v_add_f64 v[51:52], v[51:52], v[65:66]
	s_clause 0x1
	buffer_load_dword v65, off, s[64:67], 0 offset:456
	buffer_load_dword v66, off, s[64:67], 0 offset:460
	s_waitcnt vmcnt(0)
	v_add_f64 v[57:58], v[57:58], v[65:66]
	s_clause 0x5
	buffer_load_dword v65, off, s[64:67], 0 offset:320
	buffer_load_dword v66, off, s[64:67], 0 offset:324
	;; [unrolled: 1-line block ×6, first 2 shown]
	s_waitcnt vmcnt(4)
	v_fma_f64 v[65:66], v[85:86], s[42:43], -v[65:66]
	s_waitcnt vmcnt(2)
	v_fma_f64 v[67:68], v[73:74], s[44:45], v[67:68]
	s_waitcnt vmcnt(0)
	v_fma_f64 v[69:70], v[219:220], s[28:29], -v[69:70]
	v_add_f64 v[14:15], v[65:66], v[14:15]
	v_add_f64 v[10:11], v[67:68], v[10:11]
	;; [unrolled: 1-line block ×3, first 2 shown]
	s_clause 0x1
	buffer_load_dword v69, off, s[64:67], 0 offset:432
	buffer_load_dword v70, off, s[64:67], 0 offset:436
	s_waitcnt vmcnt(0)
	v_add_f64 v[51:52], v[51:52], v[69:70]
	s_clause 0x1
	buffer_load_dword v69, off, s[64:67], 0 offset:424
	buffer_load_dword v70, off, s[64:67], 0 offset:428
	s_waitcnt vmcnt(0)
	v_add_f64 v[57:58], v[57:58], v[69:70]
	s_clause 0x5
	buffer_load_dword v69, off, s[64:67], 0 offset:352
	buffer_load_dword v70, off, s[64:67], 0 offset:356
	;; [unrolled: 1-line block ×6, first 2 shown]
	s_waitcnt vmcnt(4)
	v_fma_f64 v[69:70], v[197:198], s[26:27], -v[69:70]
	s_waitcnt vmcnt(2)
	v_fma_f64 v[65:66], v[77:78], s[40:41], v[65:66]
	s_waitcnt vmcnt(0)
	v_fma_f64 v[67:68], v[201:202], s[34:35], v[67:68]
	v_add_f64 v[14:15], v[69:70], v[14:15]
	v_add_f64 v[10:11], v[65:66], v[10:11]
	;; [unrolled: 1-line block ×3, first 2 shown]
	s_clause 0x1
	buffer_load_dword v67, off, s[64:67], 0 offset:360
	buffer_load_dword v68, off, s[64:67], 0 offset:364
	s_waitcnt vmcnt(0)
	v_add_f64 v[51:52], v[51:52], v[67:68]
	s_clause 0x1
	buffer_load_dword v67, off, s[64:67], 0 offset:344
	buffer_load_dword v68, off, s[64:67], 0 offset:348
	s_waitcnt vmcnt(0)
	v_add_f64 v[57:58], v[57:58], v[67:68]
	s_clause 0x5
	buffer_load_dword v67, off, s[64:67], 0 offset:376
	buffer_load_dword v68, off, s[64:67], 0 offset:380
	;; [unrolled: 1-line block ×6, first 2 shown]
	s_waitcnt vmcnt(4)
	v_fma_f64 v[67:68], v[203:204], s[36:37], -v[67:68]
	s_waitcnt vmcnt(2)
	v_fma_f64 v[69:70], v[81:82], s[38:39], v[69:70]
	s_waitcnt vmcnt(0)
	v_fma_f64 v[65:66], v[225:226], s[26:27], -v[65:66]
	v_mul_f64 v[81:82], v[45:46], v[0:1]
	v_add_f64 v[14:15], v[67:68], v[14:15]
	v_add_f64 v[10:11], v[69:70], v[10:11]
	;; [unrolled: 1-line block ×3, first 2 shown]
	s_clause 0x1
	buffer_load_dword v65, off, s[64:67], 0 offset:288
	buffer_load_dword v66, off, s[64:67], 0 offset:292
	s_waitcnt vmcnt(0)
	v_add_f64 v[51:52], v[51:52], v[65:66]
	s_clause 0x1
	buffer_load_dword v65, off, s[64:67], 0 offset:280
	buffer_load_dword v66, off, s[64:67], 0 offset:284
	s_waitcnt vmcnt(0)
	v_add_f64 v[57:58], v[57:58], v[65:66]
	s_clause 0x5
	buffer_load_dword v65, off, s[64:67], 0 offset:392
	buffer_load_dword v66, off, s[64:67], 0 offset:396
	;; [unrolled: 1-line block ×6, first 2 shown]
	s_waitcnt vmcnt(4)
	v_fma_f64 v[65:66], v[211:212], s[28:29], -v[65:66]
	s_waitcnt vmcnt(2)
	v_fma_f64 v[67:68], v[87:88], s[30:31], v[67:68]
	s_waitcnt vmcnt(0)
	v_fma_f64 v[69:70], v[217:218], s[10:11], -v[69:70]
	v_add_f64 v[14:15], v[65:66], v[14:15]
	v_add_f64 v[10:11], v[67:68], v[10:11]
	v_add_f64 v[59:60], v[69:70], v[59:60]
	s_clause 0x1
	buffer_load_dword v69, off, s[64:67], 0 offset:272
	buffer_load_dword v70, off, s[64:67], 0 offset:276
	v_mul_f64 v[83:84], v[59:60], v[4:5]
	s_waitcnt vmcnt(0)
	v_add_f64 v[51:52], v[51:52], v[69:70]
	s_clause 0x1
	buffer_load_dword v69, off, s[64:67], 0 offset:264
	buffer_load_dword v70, off, s[64:67], 0 offset:268
	s_waitcnt vmcnt(0)
	v_add_f64 v[57:58], v[57:58], v[69:70]
	s_clause 0x5
	buffer_load_dword v69, off, s[64:67], 0 offset:408
	buffer_load_dword v70, off, s[64:67], 0 offset:412
	buffer_load_dword v65, off, s[64:67], 0 offset:336
	buffer_load_dword v66, off, s[64:67], 0 offset:340
	buffer_load_dword v67, off, s[64:67], 0 offset:616
	buffer_load_dword v68, off, s[64:67], 0 offset:620
	s_waitcnt vmcnt(4)
	v_fma_f64 v[69:70], v[219:220], s[22:23], -v[69:70]
	s_waitcnt vmcnt(2)
	v_fma_f64 v[65:66], v[193:194], s[24:25], v[65:66]
	s_waitcnt vmcnt(0)
	v_fma_f64 v[67:68], v[209:210], s[6:7], v[67:68]
	v_add_f64 v[14:15], v[69:70], v[14:15]
	v_add_f64 v[10:11], v[65:66], v[10:11]
	;; [unrolled: 1-line block ×3, first 2 shown]
	s_clause 0x1
	buffer_load_dword v67, off, s[64:67], 0 offset:256
	buffer_load_dword v68, off, s[64:67], 0 offset:260
	v_mul_f64 v[85:86], v[47:48], v[4:5]
	s_waitcnt vmcnt(0)
	v_add_f64 v[51:52], v[51:52], v[67:68]
	s_clause 0x10
	buffer_load_dword v67, off, s[64:67], 0 offset:416
	buffer_load_dword v68, off, s[64:67], 0 offset:420
	;; [unrolled: 1-line block ×17, first 2 shown]
	s_waitcnt vmcnt(15)
	v_fma_f64 v[67:68], v[225:226], s[18:19], -v[67:68]
	s_waitcnt vmcnt(13)
	v_fma_f64 v[69:70], v[201:202], s[20:21], v[69:70]
	s_waitcnt vmcnt(11)
	v_mul_f64 v[65:66], v[87:88], v[223:224]
	s_waitcnt vmcnt(9)
	v_add_f64 v[57:58], v[57:58], v[71:72]
	v_mul_f64 v[71:72], v[8:9], v[12:13]
	v_mul_f64 v[12:13], v[2:3], v[12:13]
	s_waitcnt vmcnt(7)
	v_fma_f64 v[73:74], v[217:218], s[14:15], -v[73:74]
	s_waitcnt vmcnt(1)
	v_fma_f64 v[79:80], v[209:210], s[12:13], v[79:80]
	v_add_f64 v[14:15], v[67:68], v[14:15]
	v_mul_f64 v[67:68], v[92:93], v[215:216]
	v_fma_f64 v[65:66], v[221:222], v[77:78], v[65:66]
	v_mul_f64 v[77:78], v[77:78], v[223:224]
	v_fma_f64 v[2:3], v[2:3], v[6:7], v[71:72]
	v_mul_f64 v[71:72], v[49:50], v[0:1]
	v_fma_f64 v[0:1], v[8:9], v[6:7], -v[12:13]
	s_clause 0x1
	buffer_load_dword v12, off, s[64:67], 0 offset:72
	buffer_load_dword v13, off, s[64:67], 0 offset:76
	s_waitcnt vmcnt(2)
	v_mul_hi_u32 v8, 0x226b903, v4
	v_fma_f64 v[4:5], v[22:23], v[18:19], -v[20:21]
	buffer_load_dword v23, off, s[64:67], 0 ; 4-byte Folded Reload
	v_add_f64 v[10:11], v[69:70], v[10:11]
	v_mul_f64 v[69:70], v[43:44], v[24:25]
	v_mul_f64 v[24:25], v[41:42], v[24:25]
	v_fma_f64 v[6:7], v[16:17], v[18:19], v[75:76]
	v_fma_f64 v[18:19], v[47:48], v[30:31], v[83:84]
	v_mad_u32_u24 v91, 0x121, v8, v255
	v_fma_f64 v[16:17], v[59:60], v[30:31], -v[85:86]
	v_mad_u64_u32 v[89:90], null, s0, v91, 0
	v_add_nc_u32_e32 v48, 34, v91
	v_mul_f64 v[20:21], v[57:58], v[65:66]
	v_fma_f64 v[75:76], v[221:222], v[87:88], -v[77:78]
	v_mul_f64 v[87:88], v[51:52], v[65:66]
	v_add_f64 v[65:66], v[73:74], v[14:15]
	v_fma_f64 v[14:15], v[45:46], v[28:29], v[71:72]
	v_add_nc_u32_e32 v45, 17, v91
	v_add_f64 v[79:80], v[79:80], v[10:11]
	v_fma_f64 v[10:11], v[41:42], v[26:27], v[69:70]
	v_fma_f64 v[8:9], v[43:44], v[26:27], -v[24:25]
	v_mov_b32_e32 v24, v90
	v_mad_u64_u32 v[41:42], null, s0, v45, 0
	v_mad_u64_u32 v[43:44], null, s0, v48, 0
	v_mov_b32_e32 v32, v42
	v_fma_f64 v[20:21], v[51:52], v[75:76], -v[20:21]
	v_mad_u64_u32 v[45:46], null, s1, v45, v[32:33]
	v_mov_b32_e32 v32, v44
	v_mov_b32_e32 v42, v45
	v_add_nc_u32_e32 v45, 0x55, v91
	s_waitcnt vmcnt(1)
	v_mul_f64 v[77:78], v[12:13], v[215:216]
	v_fma_f64 v[67:68], v[213:214], v[12:13], v[67:68]
	v_fma_f64 v[12:13], v[49:50], v[28:29], -v[81:82]
	s_waitcnt vmcnt(0)
	v_mad_u64_u32 v[73:74], null, s2, v23, 0
	v_mad_u64_u32 v[48:49], null, s1, v48, v[32:33]
	v_add_nc_u32_e32 v32, 0x44, v91
	v_mov_b32_e32 v22, v74
	v_mov_b32_e32 v44, v48
	v_mad_u64_u32 v[25:26], null, s3, v23, v[22:23]
	v_fma_f64 v[22:23], v[57:58], v[75:76], v[87:88]
	s_lshl_b64 s[2:3], s[4:5], 4
	v_add_nc_u32_e32 v57, 51, v91
	s_add_u32 s2, s8, s2
	v_fma_f64 v[28:29], v[213:214], v[92:93], -v[77:78]
	v_mul_f64 v[30:31], v[65:66], v[67:68]
	v_mad_u64_u32 v[26:27], null, s1, v91, v[24:25]
	v_mov_b32_e32 v74, v25
	v_mul_f64 v[24:25], v[79:80], v[67:68]
	s_addc_u32 s3, s9, s3
	v_mad_u64_u32 v[49:50], null, s0, v57, 0
	v_mov_b32_e32 v90, v26
	v_lshlrev_b64 v[26:27], 4, v[73:74]
	v_add_co_u32 v51, vcc_lo, s2, v26
	v_add_co_ci_u32_e32 v52, vcc_lo, s3, v27, vcc_lo
	v_lshlrev_b64 v[26:27], 4, v[89:90]
	v_fma_f64 v[24:25], v[65:66], v[28:29], -v[24:25]
	v_add_co_u32 v46, vcc_lo, v51, v26
	v_add_co_ci_u32_e32 v47, vcc_lo, v52, v27, vcc_lo
	v_fma_f64 v[26:27], v[79:80], v[28:29], v[30:31]
	v_mad_u64_u32 v[28:29], null, s0, v32, 0
	global_store_dwordx4 v[46:47], v[20:23], off
	v_mov_b32_e32 v22, v50
	v_lshlrev_b64 v[20:21], 4, v[41:42]
	v_lshlrev_b64 v[30:31], 4, v[43:44]
	v_mad_u64_u32 v[41:42], null, s0, v45, 0
	v_mad_u64_u32 v[22:23], null, s1, v57, v[22:23]
	v_mov_b32_e32 v23, v29
	v_add_co_u32 v20, vcc_lo, v51, v20
	v_add_co_ci_u32_e32 v21, vcc_lo, v52, v21, vcc_lo
	v_add_nc_u32_e32 v43, 0x66, v91
	v_mov_b32_e32 v50, v22
	v_mad_u64_u32 v[22:23], null, s1, v32, v[23:24]
	v_add_co_u32 v29, vcc_lo, v51, v30
	v_add_co_ci_u32_e32 v30, vcc_lo, v52, v31, vcc_lo
	v_mad_u64_u32 v[31:32], null, s0, v43, 0
	v_mov_b32_e32 v23, v42
	global_store_dwordx4 v[20:21], v[24:27], off
	global_store_dwordx4 v[29:30], v[16:19], off
	v_mov_b32_e32 v29, v22
	v_lshlrev_b64 v[16:17], 4, v[49:50]
	v_add_nc_u32_e32 v22, 0x77, v91
	v_mad_u64_u32 v[18:19], null, s1, v45, v[23:24]
	v_lshlrev_b64 v[20:21], 4, v[28:29]
	v_mov_b32_e32 v19, v32
	v_add_co_u32 v16, vcc_lo, v51, v16
	v_add_co_ci_u32_e32 v17, vcc_lo, v52, v17, vcc_lo
	v_mov_b32_e32 v42, v18
	v_mad_u64_u32 v[18:19], null, s1, v43, v[19:20]
	v_add_co_u32 v19, vcc_lo, v51, v20
	global_store_dwordx4 v[16:17], v[12:15], off
	v_mad_u64_u32 v[14:15], null, s0, v22, 0
	v_lshlrev_b64 v[12:13], 4, v[41:42]
	v_add_co_ci_u32_e32 v20, vcc_lo, v52, v21, vcc_lo
	v_mov_b32_e32 v32, v18
	v_add_nc_u32_e32 v21, 0x88, v91
	v_add_nc_u32_e32 v23, 0x99, v91
	global_store_dwordx4 v[19:20], v[8:11], off
	v_add_co_u32 v8, vcc_lo, v51, v12
	v_lshlrev_b64 v[11:12], 4, v[31:32]
	v_mad_u64_u32 v[16:17], null, s0, v21, 0
	v_mov_b32_e32 v10, v15
	v_add_co_ci_u32_e32 v9, vcc_lo, v52, v13, vcc_lo
	v_add_nc_u32_e32 v24, 0xaa, v91
	v_mad_u64_u32 v[18:19], null, s1, v22, v[10:11]
	v_add_co_u32 v10, vcc_lo, v51, v11
	v_add_co_ci_u32_e32 v11, vcc_lo, v52, v12, vcc_lo
	v_mov_b32_e32 v12, v17
	v_mad_u64_u32 v[19:20], null, s0, v23, 0
	global_store_dwordx4 v[8:9], v[4:7], off
	v_mov_b32_e32 v15, v18
	v_mad_u64_u32 v[12:13], null, s1, v21, v[12:13]
	v_mad_u64_u32 v[21:22], null, s0, v24, 0
	v_mov_b32_e32 v4, v20
	global_store_dwordx4 v[10:11], v[0:3], off
	v_lshlrev_b64 v[0:1], 4, v[14:15]
	v_add_nc_u32_e32 v9, 0xbb, v91
	v_mov_b32_e32 v17, v12
	v_mad_u64_u32 v[2:3], null, s1, v23, v[4:5]
	v_mov_b32_e32 v3, v22
	v_add_co_u32 v0, vcc_lo, v51, v0
	v_lshlrev_b64 v[4:5], 4, v[16:17]
	v_add_co_ci_u32_e32 v1, vcc_lo, v52, v1, vcc_lo
	v_mov_b32_e32 v20, v2
	v_add_nc_u32_e32 v11, 0xdd, v91
	v_add_nc_u32_e32 v12, 0xee, v91
	v_mad_u64_u32 v[6:7], null, s1, v24, v[3:4]
	v_mad_u64_u32 v[7:8], null, s0, v9, 0
	v_add_co_u32 v2, vcc_lo, v51, v4
	v_add_co_ci_u32_e32 v3, vcc_lo, v52, v5, vcc_lo
	v_mov_b32_e32 v22, v6
	v_lshlrev_b64 v[4:5], 4, v[19:20]
	global_store_dwordx4 v[0:1], v[33:36], off
	global_store_dwordx4 v[2:3], v[37:40], off
	v_mov_b32_e32 v0, v8
	v_lshlrev_b64 v[1:2], 4, v[21:22]
	v_add_nc_u32_e32 v15, 0xff, v91
	v_add_co_u32 v3, vcc_lo, v51, v4
	v_add_co_ci_u32_e32 v4, vcc_lo, v52, v5, vcc_lo
	v_mad_u64_u32 v[8:9], null, s1, v9, v[0:1]
	v_add_co_u32 v0, vcc_lo, v51, v1
	v_add_co_ci_u32_e32 v1, vcc_lo, v52, v2, vcc_lo
	global_store_dwordx4 v[3:4], v[53:56], off
	v_add_nc_u32_e32 v9, 0xcc, v91
	v_mad_u64_u32 v[2:3], null, s0, v11, 0
	global_store_dwordx4 v[0:1], v[61:64], off
	s_clause 0x3
	buffer_load_dword v17, off, s[64:67], 0 offset:168
	buffer_load_dword v18, off, s[64:67], 0 offset:172
	;; [unrolled: 1-line block ×4, first 2 shown]
	v_mad_u64_u32 v[5:6], null, s0, v9, 0
	v_lshlrev_b64 v[0:1], 4, v[7:8]
	v_mad_u64_u32 v[7:8], null, s0, v12, 0
	v_add_nc_u32_e32 v16, 0x110, v91
	v_mov_b32_e32 v4, v6
	v_add_co_u32 v0, vcc_lo, v51, v0
	v_add_co_ci_u32_e32 v1, vcc_lo, v52, v1, vcc_lo
	v_mad_u64_u32 v[9:10], null, s1, v9, v[4:5]
	v_mad_u64_u32 v[3:4], null, s1, v11, v[3:4]
	v_mov_b32_e32 v4, v8
	v_mad_u64_u32 v[10:11], null, s0, v15, 0
	v_mov_b32_e32 v6, v9
	v_mad_u64_u32 v[12:13], null, s1, v12, v[4:5]
	v_mad_u64_u32 v[13:14], null, s0, v16, 0
	v_lshlrev_b64 v[2:3], 4, v[2:3]
	v_lshlrev_b64 v[4:5], 4, v[5:6]
	v_mov_b32_e32 v8, v12
	v_add_co_u32 v4, vcc_lo, v51, v4
	v_add_co_ci_u32_e32 v5, vcc_lo, v52, v5, vcc_lo
	v_lshlrev_b64 v[6:7], 4, v[7:8]
	s_waitcnt vmcnt(0)
	global_store_dwordx4 v[0:1], v[17:20], off
	v_mov_b32_e32 v0, v11
	v_mad_u64_u32 v[0:1], null, s1, v15, v[0:1]
	v_mov_b32_e32 v1, v14
	v_mad_u64_u32 v[14:15], null, s1, v16, v[1:2]
	v_mov_b32_e32 v11, v0
	v_add_co_u32 v0, vcc_lo, v51, v2
	v_add_co_ci_u32_e32 v1, vcc_lo, v52, v3, vcc_lo
	v_lshlrev_b64 v[2:3], 4, v[10:11]
	v_lshlrev_b64 v[8:9], 4, v[13:14]
	s_clause 0x3
	buffer_load_dword v10, off, s[64:67], 0 offset:80
	buffer_load_dword v11, off, s[64:67], 0 offset:84
	;; [unrolled: 1-line block ×4, first 2 shown]
	v_add_co_u32 v6, vcc_lo, v51, v6
	v_add_co_ci_u32_e32 v7, vcc_lo, v52, v7, vcc_lo
	v_add_co_u32 v2, vcc_lo, v51, v2
	v_add_co_ci_u32_e32 v3, vcc_lo, v52, v3, vcc_lo
	;; [unrolled: 2-line block ×3, first 2 shown]
	s_waitcnt vmcnt(0)
	global_store_dwordx4 v[4:5], v[10:13], off
	s_clause 0x3
	buffer_load_dword v10, off, s[64:67], 0 offset:56
	buffer_load_dword v11, off, s[64:67], 0 offset:60
	buffer_load_dword v12, off, s[64:67], 0 offset:64
	buffer_load_dword v13, off, s[64:67], 0 offset:68
	s_waitcnt vmcnt(0)
	global_store_dwordx4 v[0:1], v[10:13], off
	s_clause 0x3
	buffer_load_dword v10, off, s[64:67], 0 offset:40
	buffer_load_dword v11, off, s[64:67], 0 offset:44
	buffer_load_dword v12, off, s[64:67], 0 offset:48
	buffer_load_dword v13, off, s[64:67], 0 offset:52
	;; [unrolled: 7-line block ×4, first 2 shown]
	s_waitcnt vmcnt(0)
	global_store_dwordx4 v[8:9], v[0:3], off
.LBB0_18:
	s_endpgm
	.section	.rodata,"a",@progbits
	.p2align	6, 0x0
	.amdhsa_kernel fft_rtc_fwd_len289_factors_17_17_wgs_119_tpt_17_dp_ip_CI_sbcc_twdbase5_3step_dirReg
		.amdhsa_group_segment_fixed_size 0
		.amdhsa_private_segment_fixed_size 876
		.amdhsa_kernarg_size 96
		.amdhsa_user_sgpr_count 6
		.amdhsa_user_sgpr_private_segment_buffer 1
		.amdhsa_user_sgpr_dispatch_ptr 0
		.amdhsa_user_sgpr_queue_ptr 0
		.amdhsa_user_sgpr_kernarg_segment_ptr 1
		.amdhsa_user_sgpr_dispatch_id 0
		.amdhsa_user_sgpr_flat_scratch_init 0
		.amdhsa_user_sgpr_private_segment_size 0
		.amdhsa_wavefront_size32 1
		.amdhsa_uses_dynamic_stack 0
		.amdhsa_system_sgpr_private_segment_wavefront_offset 1
		.amdhsa_system_sgpr_workgroup_id_x 1
		.amdhsa_system_sgpr_workgroup_id_y 0
		.amdhsa_system_sgpr_workgroup_id_z 0
		.amdhsa_system_sgpr_workgroup_info 0
		.amdhsa_system_vgpr_workitem_id 0
		.amdhsa_next_free_vgpr 256
		.amdhsa_next_free_sgpr 68
		.amdhsa_reserve_vcc 1
		.amdhsa_reserve_flat_scratch 0
		.amdhsa_float_round_mode_32 0
		.amdhsa_float_round_mode_16_64 0
		.amdhsa_float_denorm_mode_32 3
		.amdhsa_float_denorm_mode_16_64 3
		.amdhsa_dx10_clamp 1
		.amdhsa_ieee_mode 1
		.amdhsa_fp16_overflow 0
		.amdhsa_workgroup_processor_mode 1
		.amdhsa_memory_ordered 1
		.amdhsa_forward_progress 0
		.amdhsa_shared_vgpr_count 0
		.amdhsa_exception_fp_ieee_invalid_op 0
		.amdhsa_exception_fp_denorm_src 0
		.amdhsa_exception_fp_ieee_div_zero 0
		.amdhsa_exception_fp_ieee_overflow 0
		.amdhsa_exception_fp_ieee_underflow 0
		.amdhsa_exception_fp_ieee_inexact 0
		.amdhsa_exception_int_div_zero 0
	.end_amdhsa_kernel
	.text
.Lfunc_end0:
	.size	fft_rtc_fwd_len289_factors_17_17_wgs_119_tpt_17_dp_ip_CI_sbcc_twdbase5_3step_dirReg, .Lfunc_end0-fft_rtc_fwd_len289_factors_17_17_wgs_119_tpt_17_dp_ip_CI_sbcc_twdbase5_3step_dirReg
                                        ; -- End function
	.section	.AMDGPU.csdata,"",@progbits
; Kernel info:
; codeLenInByte = 23680
; NumSgprs: 70
; NumVgprs: 256
; ScratchSize: 876
; MemoryBound: 1
; FloatMode: 240
; IeeeMode: 1
; LDSByteSize: 0 bytes/workgroup (compile time only)
; SGPRBlocks: 8
; VGPRBlocks: 31
; NumSGPRsForWavesPerEU: 70
; NumVGPRsForWavesPerEU: 256
; Occupancy: 4
; WaveLimiterHint : 1
; COMPUTE_PGM_RSRC2:SCRATCH_EN: 1
; COMPUTE_PGM_RSRC2:USER_SGPR: 6
; COMPUTE_PGM_RSRC2:TRAP_HANDLER: 0
; COMPUTE_PGM_RSRC2:TGID_X_EN: 1
; COMPUTE_PGM_RSRC2:TGID_Y_EN: 0
; COMPUTE_PGM_RSRC2:TGID_Z_EN: 0
; COMPUTE_PGM_RSRC2:TIDIG_COMP_CNT: 0
	.text
	.p2alignl 6, 3214868480
	.fill 48, 4, 3214868480
	.type	__hip_cuid_f06313cc8c6bba51,@object ; @__hip_cuid_f06313cc8c6bba51
	.section	.bss,"aw",@nobits
	.globl	__hip_cuid_f06313cc8c6bba51
__hip_cuid_f06313cc8c6bba51:
	.byte	0                               ; 0x0
	.size	__hip_cuid_f06313cc8c6bba51, 1

	.ident	"AMD clang version 19.0.0git (https://github.com/RadeonOpenCompute/llvm-project roc-6.4.0 25133 c7fe45cf4b819c5991fe208aaa96edf142730f1d)"
	.section	".note.GNU-stack","",@progbits
	.addrsig
	.addrsig_sym __hip_cuid_f06313cc8c6bba51
	.amdgpu_metadata
---
amdhsa.kernels:
  - .args:
      - .actual_access:  read_only
        .address_space:  global
        .offset:         0
        .size:           8
        .value_kind:     global_buffer
      - .address_space:  global
        .offset:         8
        .size:           8
        .value_kind:     global_buffer
      - .offset:         16
        .size:           8
        .value_kind:     by_value
      - .actual_access:  read_only
        .address_space:  global
        .offset:         24
        .size:           8
        .value_kind:     global_buffer
      - .actual_access:  read_only
        .address_space:  global
        .offset:         32
        .size:           8
        .value_kind:     global_buffer
      - .offset:         40
        .size:           8
        .value_kind:     by_value
      - .actual_access:  read_only
        .address_space:  global
        .offset:         48
        .size:           8
        .value_kind:     global_buffer
      - .actual_access:  read_only
        .address_space:  global
        .offset:         56
        .size:           8
        .value_kind:     global_buffer
      - .offset:         64
        .size:           4
        .value_kind:     by_value
      - .actual_access:  read_only
        .address_space:  global
        .offset:         72
        .size:           8
        .value_kind:     global_buffer
      - .actual_access:  read_only
        .address_space:  global
        .offset:         80
        .size:           8
        .value_kind:     global_buffer
      - .address_space:  global
        .offset:         88
        .size:           8
        .value_kind:     global_buffer
    .group_segment_fixed_size: 0
    .kernarg_segment_align: 8
    .kernarg_segment_size: 96
    .language:       OpenCL C
    .language_version:
      - 2
      - 0
    .max_flat_workgroup_size: 119
    .name:           fft_rtc_fwd_len289_factors_17_17_wgs_119_tpt_17_dp_ip_CI_sbcc_twdbase5_3step_dirReg
    .private_segment_fixed_size: 876
    .sgpr_count:     70
    .sgpr_spill_count: 0
    .symbol:         fft_rtc_fwd_len289_factors_17_17_wgs_119_tpt_17_dp_ip_CI_sbcc_twdbase5_3step_dirReg.kd
    .uniform_work_group_size: 1
    .uses_dynamic_stack: false
    .vgpr_count:     256
    .vgpr_spill_count: 218
    .wavefront_size: 32
    .workgroup_processor_mode: 1
amdhsa.target:   amdgcn-amd-amdhsa--gfx1030
amdhsa.version:
  - 1
  - 2
...

	.end_amdgpu_metadata
